;; amdgpu-corpus repo=ROCm/rocFFT kind=compiled arch=gfx906 opt=O3
	.text
	.amdgcn_target "amdgcn-amd-amdhsa--gfx906"
	.amdhsa_code_object_version 6
	.protected	bluestein_single_back_len1456_dim1_sp_op_CI_CI ; -- Begin function bluestein_single_back_len1456_dim1_sp_op_CI_CI
	.globl	bluestein_single_back_len1456_dim1_sp_op_CI_CI
	.p2align	8
	.type	bluestein_single_back_len1456_dim1_sp_op_CI_CI,@function
bluestein_single_back_len1456_dim1_sp_op_CI_CI: ; @bluestein_single_back_len1456_dim1_sp_op_CI_CI
; %bb.0:
	s_load_dwordx4 s[0:3], s[4:5], 0x28
	v_mul_u32_u24_e32 v1, 0x169, v0
	v_add_u32_sdwa v58, s6, v1 dst_sel:DWORD dst_unused:UNUSED_PAD src0_sel:DWORD src1_sel:WORD_1
	v_mov_b32_e32 v59, 0
	s_waitcnt lgkmcnt(0)
	v_cmp_gt_u64_e32 vcc, s[0:1], v[58:59]
	s_and_saveexec_b64 s[0:1], vcc
	s_cbranch_execz .LBB0_23
; %bb.1:
	s_load_dwordx2 s[14:15], s[4:5], 0x0
	s_load_dwordx2 s[12:13], s[4:5], 0x38
	s_movk_i32 s0, 0xb6
	v_mul_lo_u16_sdwa v1, v1, s0 dst_sel:DWORD dst_unused:UNUSED_PAD src0_sel:WORD_1 src1_sel:DWORD
	v_sub_u16_e32 v88, v0, v1
	s_movk_i32 s0, 0x70
	v_cmp_gt_u16_e32 vcc, s0, v88
	v_lshlrev_b32_e32 v87, 3, v88
	s_and_saveexec_b64 s[6:7], vcc
	s_cbranch_execz .LBB0_3
; %bb.2:
	s_load_dwordx2 s[0:1], s[4:5], 0x18
	v_or_b32_e32 v35, 0x380, v88
	s_waitcnt lgkmcnt(0)
	s_load_dwordx4 s[8:11], s[0:1], 0x0
	s_waitcnt lgkmcnt(0)
	v_mad_u64_u32 v[0:1], s[0:1], s10, v58, 0
	v_mad_u64_u32 v[2:3], s[0:1], s8, v88, 0
	;; [unrolled: 1-line block ×4, first 2 shown]
	v_mov_b32_e32 v1, v4
	v_lshlrev_b64 v[0:1], 3, v[0:1]
	v_mov_b32_e32 v3, v5
	v_mov_b32_e32 v6, s3
	v_lshlrev_b64 v[2:3], 3, v[2:3]
	v_add_co_u32_e64 v33, s[0:1], s2, v0
	v_addc_co_u32_e64 v34, s[0:1], v6, v1, s[0:1]
	v_add_co_u32_e64 v0, s[0:1], v33, v2
	v_addc_co_u32_e64 v1, s[0:1], v34, v3, s[0:1]
	v_mov_b32_e32 v2, s15
	v_add_co_u32_e64 v45, s[0:1], s14, v87
	v_addc_co_u32_e64 v46, s[0:1], 0, v2, s[0:1]
	s_mul_i32 s0, s9, 0x380
	s_mul_hi_u32 s2, s8, 0x380
	s_add_i32 s2, s2, s0
	s_mul_i32 s3, s8, 0x380
	v_mov_b32_e32 v3, s2
	v_add_co_u32_e64 v2, s[0:1], s3, v0
	v_addc_co_u32_e64 v3, s[0:1], v1, v3, s[0:1]
	v_mov_b32_e32 v5, s2
	v_add_co_u32_e64 v4, s[0:1], s3, v2
	v_addc_co_u32_e64 v5, s[0:1], v3, v5, s[0:1]
	;; [unrolled: 3-line block ×3, first 2 shown]
	global_load_dwordx2 v[8:9], v[0:1], off
	global_load_dwordx2 v[10:11], v[2:3], off
	;; [unrolled: 1-line block ×4, first 2 shown]
	global_load_dwordx2 v[16:17], v87, s[14:15]
	global_load_dwordx2 v[18:19], v87, s[14:15] offset:896
	global_load_dwordx2 v[20:21], v87, s[14:15] offset:1792
	;; [unrolled: 1-line block ×3, first 2 shown]
	v_mov_b32_e32 v1, s2
	v_add_co_u32_e64 v0, s[0:1], s3, v6
	v_addc_co_u32_e64 v1, s[0:1], v7, v1, s[0:1]
	global_load_dwordx2 v[2:3], v[0:1], off
	global_load_dwordx2 v[4:5], v87, s[14:15] offset:3584
	v_mov_b32_e32 v6, s2
	v_add_co_u32_e64 v0, s[0:1], s3, v0
	v_addc_co_u32_e64 v1, s[0:1], v1, v6, s[0:1]
	s_movk_i32 s0, 0x1000
	v_add_co_u32_e64 v24, s[0:1], s0, v45
	v_addc_co_u32_e64 v25, s[0:1], 0, v46, s[0:1]
	v_mad_u64_u32 v[26:27], s[0:1], s8, v35, 0
	global_load_dwordx2 v[6:7], v[0:1], off
	v_mov_b32_e32 v28, s2
	v_add_co_u32_e64 v0, s[0:1], s3, v0
	v_addc_co_u32_e64 v1, s[0:1], v1, v28, s[0:1]
	global_load_dwordx2 v[28:29], v[0:1], off
	v_mov_b32_e32 v32, s2
	global_load_dwordx2 v[37:38], v[24:25], off offset:1280
	s_waitcnt vmcnt(1)
	v_mad_u64_u32 v[30:31], s[0:1], s9, v35, v[27:28]
	v_add_co_u32_e64 v0, s[0:1], s3, v0
	v_mov_b32_e32 v27, v30
	v_lshlrev_b64 v[26:27], 3, v[26:27]
	v_addc_co_u32_e64 v1, s[0:1], v1, v32, s[0:1]
	v_add_co_u32_e64 v26, s[0:1], v33, v26
	v_lshlrev_b32_e32 v30, 3, v35
	v_mov_b32_e32 v35, 0x700
	global_load_dwordx2 v[31:32], v[0:1], off
	v_addc_co_u32_e64 v27, s[0:1], v34, v27, s[0:1]
	v_mad_u64_u32 v[0:1], s[0:1], s8, v35, v[0:1]
	s_mul_i32 s0, s9, 0x700
	global_load_dwordx2 v[26:27], v[26:27], off
	v_add_u32_e32 v1, s0, v1
	global_load_dwordx2 v[33:34], v[24:25], off offset:384
	global_load_dwordx2 v[35:36], v30, s[14:15]
	global_load_dwordx2 v[39:40], v[0:1], off
	global_load_dwordx2 v[41:42], v[24:25], off offset:2176
	global_load_dwordx2 v[43:44], v[24:25], off offset:3968
	v_mov_b32_e32 v24, s2
	v_add_co_u32_e64 v0, s[0:1], s3, v0
	v_addc_co_u32_e64 v1, s[0:1], v1, v24, s[0:1]
	s_movk_i32 s0, 0x2000
	v_add_co_u32_e64 v45, s[0:1], s0, v45
	v_addc_co_u32_e64 v46, s[0:1], 0, v46, s[0:1]
	global_load_dwordx2 v[24:25], v[0:1], off
	v_mov_b32_e32 v30, s2
	v_add_co_u32_e64 v0, s[0:1], s3, v0
	v_addc_co_u32_e64 v1, s[0:1], v1, v30, s[0:1]
	global_load_dwordx2 v[47:48], v[45:46], off offset:768
	global_load_dwordx2 v[49:50], v[0:1], off
	global_load_dwordx2 v[51:52], v[45:46], off offset:1664
	v_add_co_u32_e64 v0, s[0:1], s3, v0
	v_addc_co_u32_e64 v1, s[0:1], v1, v30, s[0:1]
	global_load_dwordx2 v[53:54], v[0:1], off
	global_load_dwordx2 v[55:56], v[45:46], off offset:2560
	v_mul_f32_e32 v0, v9, v17
	v_mul_f32_e32 v1, v8, v17
	v_fmac_f32_e32 v0, v8, v16
	v_fma_f32 v1, v9, v16, -v1
	v_mul_f32_e32 v8, v11, v19
	v_mul_f32_e32 v9, v10, v19
	v_fmac_f32_e32 v8, v10, v18
	v_fma_f32 v9, v11, v18, -v9
	ds_write2_b64 v87, v[0:1], v[8:9] offset1:112
	v_mul_f32_e32 v0, v13, v21
	v_mul_f32_e32 v1, v12, v21
	;; [unrolled: 1-line block ×4, first 2 shown]
	v_fmac_f32_e32 v0, v12, v20
	v_fma_f32 v1, v13, v20, -v1
	v_fmac_f32_e32 v8, v14, v22
	v_fma_f32 v9, v15, v22, -v9
	v_add_u32_e32 v10, 0x400, v87
	ds_write2_b64 v10, v[0:1], v[8:9] offset0:96 offset1:208
	v_mul_f32_e32 v0, v3, v5
	v_mul_f32_e32 v1, v2, v5
	v_fmac_f32_e32 v0, v2, v4
	v_fma_f32 v1, v3, v4, -v1
	v_add_u32_e32 v4, 0xc00, v87
	s_waitcnt vmcnt(10)
	v_mul_f32_e32 v2, v7, v34
	v_mul_f32_e32 v3, v6, v34
	v_fmac_f32_e32 v2, v6, v33
	v_fma_f32 v3, v7, v33, -v3
	ds_write2_b64 v4, v[0:1], v[2:3] offset0:64 offset1:176
	v_mul_f32_e32 v0, v29, v38
	v_mul_f32_e32 v1, v28, v38
	s_waitcnt vmcnt(7)
	v_mul_f32_e32 v2, v32, v42
	v_mul_f32_e32 v3, v31, v42
	v_fmac_f32_e32 v0, v28, v37
	v_fma_f32 v1, v29, v37, -v1
	v_fmac_f32_e32 v2, v31, v41
	v_fma_f32 v3, v32, v41, -v3
	v_add_u32_e32 v4, 0x1400, v87
	ds_write2_b64 v4, v[0:1], v[2:3] offset0:32 offset1:144
	v_mul_f32_e32 v0, v27, v36
	v_mul_f32_e32 v1, v26, v36
	s_waitcnt vmcnt(6)
	v_mul_f32_e32 v2, v40, v44
	v_mul_f32_e32 v3, v39, v44
	v_fmac_f32_e32 v0, v26, v35
	v_fma_f32 v1, v27, v35, -v1
	v_fmac_f32_e32 v2, v39, v43
	v_fma_f32 v3, v40, v43, -v3
	v_add_u32_e32 v4, 0x1800, v87
	ds_write2_b64 v4, v[0:1], v[2:3] offset0:128 offset1:240
	s_waitcnt vmcnt(4)
	v_mul_f32_e32 v0, v25, v48
	v_mul_f32_e32 v1, v24, v48
	s_waitcnt vmcnt(2)
	v_mul_f32_e32 v2, v50, v52
	v_mul_f32_e32 v3, v49, v52
	v_fmac_f32_e32 v0, v24, v47
	v_fma_f32 v1, v25, v47, -v1
	v_fmac_f32_e32 v2, v49, v51
	v_fma_f32 v3, v50, v51, -v3
	v_add_u32_e32 v4, 0x2000, v87
	ds_write2_b64 v4, v[0:1], v[2:3] offset0:96 offset1:208
	s_waitcnt vmcnt(0)
	v_mul_f32_e32 v0, v54, v56
	v_mul_f32_e32 v1, v53, v56
	v_fmac_f32_e32 v0, v53, v55
	v_fma_f32 v1, v54, v55, -v1
	ds_write_b64 v87, v[0:1] offset:10752
.LBB0_3:
	s_or_b64 exec, exec, s[6:7]
	s_load_dwordx2 s[0:1], s[4:5], 0x20
	s_load_dwordx2 s[8:9], s[4:5], 0x8
	v_mov_b32_e32 v0, 0
	v_mov_b32_e32 v1, 0
	s_waitcnt lgkmcnt(0)
	s_barrier
	s_waitcnt lgkmcnt(0)
                                        ; implicit-def: $vgpr20
                                        ; implicit-def: $vgpr24
                                        ; implicit-def: $vgpr18
                                        ; implicit-def: $vgpr14
                                        ; implicit-def: $vgpr10
                                        ; implicit-def: $vgpr6
	s_and_saveexec_b64 s[2:3], vcc
	s_cbranch_execz .LBB0_5
; %bb.4:
	v_add_u32_e32 v4, 0x400, v87
	v_add_u32_e32 v8, 0xc00, v87
	;; [unrolled: 1-line block ×5, first 2 shown]
	ds_read2_b64 v[0:3], v87 offset1:112
	ds_read2_b64 v[4:7], v4 offset0:96 offset1:208
	ds_read2_b64 v[8:11], v8 offset0:64 offset1:176
	;; [unrolled: 1-line block ×5, first 2 shown]
	ds_read_b64 v[24:25], v87 offset:10752
.LBB0_5:
	s_or_b64 exec, exec, s[2:3]
	s_waitcnt lgkmcnt(0)
	v_sub_f32_e32 v74, v3, v25
	v_mul_f32_e32 v26, 0xbeedf032, v74
	v_add_f32_e32 v40, v24, v2
	v_sub_f32_e32 v62, v2, v24
	v_mov_b32_e32 v28, v26
	v_add_f32_e32 v41, v25, v3
	s_mov_b32 s4, 0x3f62ad3f
	v_mul_f32_e32 v27, 0xbeedf032, v62
	v_fmac_f32_e32 v28, 0x3f62ad3f, v40
	v_add_f32_e32 v30, v28, v0
	v_fma_f32 v28, v41, s4, -v27
	v_sub_f32_e32 v80, v5, v23
	v_add_f32_e32 v31, v28, v1
	v_mul_f32_e32 v28, 0xbf52af12, v80
	v_add_f32_e32 v42, v22, v4
	v_sub_f32_e32 v75, v4, v22
	v_mov_b32_e32 v32, v28
	s_mov_b32 s5, 0x3f116cb1
	v_add_f32_e32 v43, v23, v5
	v_mul_f32_e32 v29, 0xbf52af12, v75
	v_fmac_f32_e32 v32, 0x3f116cb1, v42
	v_add_f32_e32 v32, v32, v30
	v_fma_f32 v30, v43, s5, -v29
	v_sub_f32_e32 v93, v7, v21
	v_add_f32_e32 v33, v30, v31
	v_mul_f32_e32 v30, 0xbf7e222b, v93
	v_add_f32_e32 v45, v20, v6
	v_sub_f32_e32 v84, v6, v20
	v_mov_b32_e32 v34, v30
	s_mov_b32 s6, 0x3df6dbef
	v_add_f32_e32 v46, v21, v7
	;; [unrolled: 12-line block ×3, first 2 shown]
	v_mul_f32_e32 v35, 0xbf6f5d39, v94
	v_fmac_f32_e32 v36, 0xbeb58ec6, v48
	v_sub_f32_e32 v103, v11, v17
	v_add_f32_e32 v32, v36, v32
	v_fma_f32 v36, v49, s7, -v35
	v_mul_f32_e32 v38, 0xbf29c268, v103
	v_add_f32_e32 v33, v36, v33
	v_add_f32_e32 v56, v16, v10
	v_sub_f32_e32 v96, v10, v16
	v_mov_b32_e32 v36, v38
	s_mov_b32 s10, 0xbf3f9e67
	v_add_f32_e32 v57, v17, v11
	v_mul_f32_e32 v39, 0xbf29c268, v96
	v_fmac_f32_e32 v36, 0xbf3f9e67, v56
	v_sub_f32_e32 v111, v13, v15
	v_add_f32_e32 v32, v36, v32
	v_fma_f32 v36, v57, s10, -v39
	v_mul_f32_e32 v44, 0xbe750f2a, v111
	v_add_f32_e32 v33, v36, v33
	v_add_f32_e32 v67, v14, v12
	v_mov_b32_e32 v36, v44
	v_sub_f32_e32 v104, v12, v14
	s_mov_b32 s11, 0xbf788fa5
	v_fmac_f32_e32 v36, 0xbf788fa5, v67
	v_add_f32_e32 v70, v15, v13
	v_mul_f32_e32 v47, 0xbe750f2a, v104
	v_mul_f32_e32 v59, 0xbf52af12, v74
	v_fma_f32 v37, v70, s11, -v47
	v_add_f32_e32 v32, v36, v32
	v_mov_b32_e32 v36, v59
	v_mul_f32_e32 v60, 0xbf6f5d39, v80
	v_add_f32_e32 v33, v37, v33
	v_fmac_f32_e32 v36, 0x3f116cb1, v40
	v_mov_b32_e32 v37, v60
	v_add_f32_e32 v36, v36, v0
	v_fmac_f32_e32 v37, 0xbeb58ec6, v42
	v_mul_f32_e32 v64, 0xbf52af12, v62
	v_add_f32_e32 v36, v37, v36
	v_fma_f32 v37, v41, s5, -v64
	v_mul_f32_e32 v66, 0xbf6f5d39, v75
	v_add_f32_e32 v37, v37, v1
	v_fma_f32 v50, v43, s7, -v66
	v_mul_f32_e32 v61, 0xbe750f2a, v93
	v_add_f32_e32 v37, v50, v37
	v_mov_b32_e32 v50, v61
	v_fmac_f32_e32 v50, 0xbf788fa5, v45
	v_mul_f32_e32 v69, 0xbe750f2a, v84
	v_add_f32_e32 v36, v50, v36
	v_fma_f32 v50, v46, s11, -v69
	v_mul_f32_e32 v63, 0x3f29c268, v95
	v_add_f32_e32 v37, v50, v37
	v_mov_b32_e32 v50, v63
	v_fmac_f32_e32 v50, 0xbf3f9e67, v48
	v_mul_f32_e32 v71, 0x3f29c268, v94
	v_add_f32_e32 v36, v50, v36
	v_fma_f32 v50, v49, s10, -v71
	v_mul_f32_e32 v65, 0x3f7e222b, v103
	v_add_f32_e32 v37, v50, v37
	v_mov_b32_e32 v50, v65
	v_fmac_f32_e32 v50, 0x3df6dbef, v56
	v_mul_f32_e32 v72, 0x3f7e222b, v96
	v_add_f32_e32 v36, v50, v36
	v_fma_f32 v50, v57, s6, -v72
	v_mul_f32_e32 v68, 0x3eedf032, v111
	v_add_f32_e32 v37, v50, v37
	v_mov_b32_e32 v50, v68
	v_fmac_f32_e32 v50, 0x3f62ad3f, v67
	v_mul_f32_e32 v73, 0x3eedf032, v104
	v_add_f32_e32 v50, v50, v36
	v_fma_f32 v36, v70, s4, -v73
	v_mul_f32_e32 v76, 0xbf7e222b, v74
	v_add_f32_e32 v51, v36, v37
	v_mov_b32_e32 v36, v76
	v_mul_f32_e32 v77, 0xbe750f2a, v80
	v_fmac_f32_e32 v36, 0x3df6dbef, v40
	v_mov_b32_e32 v37, v77
	v_add_f32_e32 v36, v36, v0
	v_fmac_f32_e32 v37, 0xbf788fa5, v42
	v_mul_f32_e32 v82, 0xbf7e222b, v62
	v_add_f32_e32 v36, v37, v36
	v_fma_f32 v37, v41, s6, -v82
	v_mul_f32_e32 v83, 0xbe750f2a, v75
	v_add_f32_e32 v37, v37, v1
	v_fma_f32 v52, v43, s11, -v83
	v_mul_f32_e32 v78, 0x3f6f5d39, v93
	v_add_f32_e32 v37, v52, v37
	v_mov_b32_e32 v52, v78
	v_fmac_f32_e32 v52, 0xbeb58ec6, v45
	v_mul_f32_e32 v86, 0x3f6f5d39, v84
	v_add_f32_e32 v36, v52, v36
	v_fma_f32 v52, v46, s7, -v86
	v_mul_f32_e32 v79, 0x3eedf032, v95
	v_add_f32_e32 v37, v52, v37
	v_mov_b32_e32 v52, v79
	v_fmac_f32_e32 v52, 0x3f62ad3f, v48
	v_mul_f32_e32 v90, 0x3eedf032, v94
	v_add_f32_e32 v36, v52, v36
	v_fma_f32 v52, v49, s4, -v90
	v_mul_f32_e32 v81, 0xbf52af12, v103
	v_add_f32_e32 v37, v52, v37
	v_mov_b32_e32 v52, v81
	v_fmac_f32_e32 v52, 0x3f116cb1, v56
	v_mul_f32_e32 v91, 0xbf52af12, v96
	v_add_f32_e32 v36, v52, v36
	v_fma_f32 v52, v57, s5, -v91
	v_mul_f32_e32 v85, 0xbf29c268, v111
	v_add_f32_e32 v37, v52, v37
	v_mov_b32_e32 v52, v85
	v_fmac_f32_e32 v52, 0xbf3f9e67, v67
	v_mul_f32_e32 v92, 0xbf29c268, v104
	v_add_f32_e32 v52, v52, v36
	v_fma_f32 v36, v70, s10, -v92
	v_mul_f32_e32 v98, 0xbf6f5d39, v74
	v_add_f32_e32 v53, v36, v37
	v_mov_b32_e32 v36, v98
	v_mul_f32_e32 v99, 0x3f29c268, v80
	;; [unrolled: 42-line block ×3, first 2 shown]
	v_fmac_f32_e32 v36, 0xbf3f9e67, v40
	v_mov_b32_e32 v37, v112
	v_add_f32_e32 v36, v36, v0
	v_fmac_f32_e32 v37, 0x3df6dbef, v42
	v_mul_f32_e32 v118, 0xbf29c268, v62
	v_add_f32_e32 v36, v37, v36
	v_fma_f32 v37, v41, s10, -v118
	v_mul_f32_e32 v119, 0x3f7e222b, v75
	v_add_f32_e32 v37, v37, v1
	v_fma_f32 v89, v43, s6, -v119
	v_mul_f32_e32 v114, 0xbf52af12, v93
	v_add_f32_e32 v37, v89, v37
	v_mov_b32_e32 v89, v114
	v_fmac_f32_e32 v89, 0x3f116cb1, v45
	v_mul_f32_e32 v120, 0xbf52af12, v84
	v_add_f32_e32 v36, v89, v36
	v_fma_f32 v89, v46, s5, -v120
	v_mul_f32_e32 v115, 0x3e750f2a, v95
	v_add_f32_e32 v37, v89, v37
	v_mov_b32_e32 v89, v115
	v_fmac_f32_e32 v89, 0xbf788fa5, v48
	v_mul_f32_e32 v121, 0x3e750f2a, v94
	v_add_f32_e32 v36, v89, v36
	v_fma_f32 v89, v49, s11, -v121
	v_mul_f32_e32 v116, 0x3eedf032, v103
	v_add_f32_e32 v37, v89, v37
	v_mov_b32_e32 v89, v116
	v_fmac_f32_e32 v89, 0x3f62ad3f, v56
	v_mul_f32_e32 v122, 0x3eedf032, v96
	v_add_f32_e32 v36, v89, v36
	v_fma_f32 v89, v57, s4, -v122
	v_mul_f32_e32 v117, 0xbf6f5d39, v111
	v_add_f32_e32 v37, v89, v37
	v_mov_b32_e32 v89, v117
	v_fmac_f32_e32 v89, 0xbeb58ec6, v67
	v_mul_f32_e32 v123, 0xbf6f5d39, v104
	v_add_f32_e32 v36, v89, v36
	v_fma_f32 v89, v70, s7, -v123
	v_add_f32_e32 v37, v89, v37
	v_mul_lo_u16_e32 v89, 13, v88
	s_barrier
	s_and_saveexec_b64 s[2:3], vcc
	s_cbranch_execz .LBB0_7
; %bb.6:
	v_mul_f32_e32 v126, 0xbf788fa5, v41
	v_mov_b32_e32 v124, v126
	v_mul_f32_e32 v127, 0x3f62ad3f, v43
	v_fmac_f32_e32 v124, 0x3e750f2a, v62
	v_mov_b32_e32 v125, v127
	v_add_f32_e32 v124, v124, v1
	v_fmac_f32_e32 v125, 0xbeedf032, v75
	v_mul_f32_e32 v128, 0xbf3f9e67, v46
	v_add_f32_e32 v124, v125, v124
	v_mov_b32_e32 v125, v128
	v_fmac_f32_e32 v125, 0x3f29c268, v84
	v_mul_f32_e32 v129, 0x3f116cb1, v49
	v_add_f32_e32 v124, v125, v124
	v_mov_b32_e32 v125, v129
	;; [unrolled: 4-line block ×4, first 2 shown]
	v_mul_f32_e32 v80, 0x3eedf032, v80
	v_fmac_f32_e32 v125, 0xbf788fa5, v40
	v_mov_b32_e32 v131, v80
	v_add_f32_e32 v125, v125, v0
	v_fmac_f32_e32 v131, 0x3f62ad3f, v42
	v_mul_f32_e32 v93, 0xbf29c268, v93
	v_add_f32_e32 v125, v131, v125
	v_mov_b32_e32 v131, v93
	v_fmac_f32_e32 v131, 0xbf3f9e67, v45
	v_mul_f32_e32 v95, 0x3f52af12, v95
	v_fmac_f32_e32 v126, 0xbe750f2a, v62
	v_add_f32_e32 v125, v131, v125
	v_mov_b32_e32 v131, v95
	v_fmac_f32_e32 v127, 0x3eedf032, v75
	v_add_f32_e32 v62, v126, v1
	v_fma_f32 v74, v40, s11, -v74
	v_fmac_f32_e32 v131, 0x3f116cb1, v48
	v_mul_f32_e32 v103, 0xbf6f5d39, v103
	v_add_f32_e32 v62, v127, v62
	v_fmac_f32_e32 v128, 0xbf29c268, v84
	v_add_f32_e32 v74, v74, v0
	v_fma_f32 v75, v42, s4, -v80
	v_add_f32_e32 v125, v131, v125
	v_mov_b32_e32 v131, v103
	v_add_f32_e32 v62, v128, v62
	v_fmac_f32_e32 v129, 0x3f52af12, v94
	v_add_f32_e32 v74, v75, v74
	v_fma_f32 v75, v45, s10, -v93
	v_mul_f32_e32 v80, 0xbf3f9e67, v41
	v_fmac_f32_e32 v131, 0xbeb58ec6, v56
	v_mul_f32_e32 v132, 0x3df6dbef, v70
	v_add_f32_e32 v62, v129, v62
	v_fmac_f32_e32 v130, 0xbf6f5d39, v96
	v_add_f32_e32 v74, v75, v74
	v_fma_f32 v75, v48, s5, -v95
	v_add_f32_e32 v80, v118, v80
	v_mul_f32_e32 v84, 0x3df6dbef, v43
	v_add_f32_e32 v131, v131, v125
	v_mov_b32_e32 v125, v132
	v_mul_f32_e32 v111, 0x3f7e222b, v111
	v_add_f32_e32 v62, v130, v62
	v_fmac_f32_e32 v132, 0x3f7e222b, v104
	v_add_f32_e32 v74, v75, v74
	v_fma_f32 v75, v56, s7, -v103
	v_add_f32_e32 v84, v119, v84
	v_add_f32_e32 v80, v80, v1
	v_mul_f32_e32 v103, 0xbf3f9e67, v40
	v_fmac_f32_e32 v125, 0xbf7e222b, v104
	v_add_f32_e32 v74, v75, v74
	v_add_f32_e32 v75, v132, v62
	v_fma_f32 v62, v67, s6, -v111
	v_add_f32_e32 v80, v84, v80
	v_mul_f32_e32 v84, 0x3f116cb1, v46
	v_sub_f32_e32 v103, v103, v113
	v_mul_f32_e32 v104, 0x3df6dbef, v42
	v_add_f32_e32 v125, v125, v124
	v_mov_b32_e32 v124, v111
	v_add_f32_e32 v74, v62, v74
	v_mul_f32_e32 v62, 0x3f62ad3f, v40
	v_mul_f32_e32 v93, 0x3f62ad3f, v41
	v_add_f32_e32 v84, v120, v84
	v_mul_f32_e32 v94, 0x3f116cb1, v40
	v_mul_f32_e32 v95, 0x3f116cb1, v41
	;; [unrolled: 1-line block ×3, first 2 shown]
	v_sub_f32_e32 v104, v104, v112
	v_mul_f32_e32 v111, 0x3df6dbef, v41
	v_mul_f32_e32 v112, 0xbeb58ec6, v40
	;; [unrolled: 1-line block ×3, first 2 shown]
	v_add_f32_e32 v40, v103, v0
	v_mul_f32_e32 v41, 0x3f116cb1, v45
	v_add_f32_e32 v80, v84, v80
	v_mul_f32_e32 v84, 0xbf788fa5, v49
	v_add_f32_e32 v40, v104, v40
	v_sub_f32_e32 v41, v41, v114
	v_add_f32_e32 v84, v121, v84
	v_add_f32_e32 v40, v41, v40
	v_mul_f32_e32 v41, 0xbf788fa5, v48
	v_add_f32_e32 v80, v84, v80
	v_mul_f32_e32 v84, 0x3f62ad3f, v57
	v_sub_f32_e32 v41, v41, v115
	v_add_f32_e32 v84, v122, v84
	v_add_f32_e32 v40, v41, v40
	v_mul_f32_e32 v41, 0x3f62ad3f, v56
	v_add_f32_e32 v80, v84, v80
	v_mul_f32_e32 v84, 0xbeb58ec6, v70
	v_sub_f32_e32 v41, v41, v116
	v_add_f32_e32 v84, v123, v84
	v_add_f32_e32 v40, v41, v40
	v_mul_f32_e32 v41, 0xbeb58ec6, v67
	v_mul_f32_e32 v104, 0x3f116cb1, v43
	v_sub_f32_e32 v115, v41, v117
	v_mul_f32_e32 v116, 0xbeb58ec6, v43
	v_add_f32_e32 v41, v84, v80
	v_mul_f32_e32 v84, 0xbf788fa5, v43
	v_mul_f32_e32 v43, 0xbf3f9e67, v43
	v_add_f32_e32 v108, v108, v113
	v_add_f32_e32 v43, v105, v43
	v_add_f32_e32 v108, v108, v1
	v_add_f32_e32 v43, v43, v108
	v_mul_f32_e32 v108, 0x3f62ad3f, v46
	v_add_f32_e32 v106, v106, v108
	v_add_f32_e32 v43, v106, v43
	v_mul_f32_e32 v106, 0x3df6dbef, v49
	v_add_f32_e32 v106, v107, v106
	v_add_f32_e32 v43, v106, v43
	v_mul_f32_e32 v106, 0xbf788fa5, v57
	v_mul_f32_e32 v103, 0x3f116cb1, v42
	;; [unrolled: 1-line block ×5, first 2 shown]
	v_add_f32_e32 v106, v109, v106
	v_sub_f32_e32 v98, v112, v98
	v_mul_f32_e32 v113, 0x3df6dbef, v45
	v_mul_f32_e32 v108, 0xbf788fa5, v45
	;; [unrolled: 1-line block ×4, first 2 shown]
	v_add_f32_e32 v43, v106, v43
	v_mul_f32_e32 v106, 0x3f116cb1, v70
	v_sub_f32_e32 v42, v42, v99
	v_add_f32_e32 v98, v98, v0
	v_add_f32_e32 v106, v110, v106
	v_mul_f32_e32 v110, 0xbeb58ec6, v48
	v_mul_f32_e32 v99, 0xbf3f9e67, v48
	v_add_f32_e32 v42, v42, v98
	v_sub_f32_e32 v45, v45, v101
	v_mul_f32_e32 v101, 0x3f62ad3f, v48
	v_mul_f32_e32 v48, 0x3df6dbef, v48
	v_add_f32_e32 v42, v45, v42
	v_sub_f32_e32 v45, v48, v100
	v_add_f32_e32 v42, v45, v42
	v_mul_f32_e32 v45, 0xbf788fa5, v56
	v_sub_f32_e32 v45, v45, v97
	v_add_f32_e32 v42, v45, v42
	v_mul_f32_e32 v45, 0x3f116cb1, v67
	v_sub_f32_e32 v45, v45, v102
	v_add_f32_e32 v42, v45, v42
	v_add_f32_e32 v45, v82, v111
	v_mul_f32_e32 v105, 0x3df6dbef, v46
	v_mul_f32_e32 v107, 0xbf788fa5, v46
	v_mul_f32_e32 v46, 0xbeb58ec6, v46
	v_add_f32_e32 v83, v83, v84
	v_add_f32_e32 v45, v45, v1
	v_mul_f32_e32 v112, 0xbeb58ec6, v49
	v_mul_f32_e32 v98, 0xbf3f9e67, v49
	v_mul_f32_e32 v49, 0x3f62ad3f, v49
	;; [unrolled: 5-line block ×3, first 2 shown]
	v_add_f32_e32 v45, v46, v45
	v_add_f32_e32 v46, v90, v49
	;; [unrolled: 1-line block ×3, first 2 shown]
	v_mul_f32_e32 v106, 0xbf788fa5, v70
	v_mul_f32_e32 v84, 0x3f62ad3f, v70
	;; [unrolled: 1-line block ×3, first 2 shown]
	v_add_f32_e32 v45, v46, v45
	v_add_f32_e32 v46, v91, v57
	;; [unrolled: 1-line block ×5, first 2 shown]
	v_sub_f32_e32 v45, v96, v76
	v_add_f32_e32 v45, v45, v0
	v_sub_f32_e32 v49, v80, v77
	v_add_f32_e32 v45, v49, v45
	;; [unrolled: 2-line block ×3, first 2 shown]
	v_mul_f32_e32 v115, 0xbf3f9e67, v56
	v_mul_f32_e32 v48, 0x3df6dbef, v56
	;; [unrolled: 1-line block ×3, first 2 shown]
	v_add_f32_e32 v45, v49, v45
	v_sub_f32_e32 v49, v101, v79
	v_fmac_f32_e32 v124, 0x3df6dbef, v67
	v_mul_f32_e32 v102, 0xbf788fa5, v67
	v_mul_f32_e32 v82, 0x3f62ad3f, v67
	;; [unrolled: 1-line block ×3, first 2 shown]
	v_add_f32_e32 v45, v49, v45
	v_sub_f32_e32 v49, v56, v81
	v_add_f32_e32 v45, v49, v45
	v_sub_f32_e32 v49, v67, v85
	v_add_f32_e32 v45, v49, v45
	v_add_f32_e32 v49, v64, v95
	;; [unrolled: 1-line block ×13, first 2 shown]
	v_sub_f32_e32 v56, v94, v59
	v_add_f32_e32 v27, v27, v93
	v_sub_f32_e32 v26, v62, v26
	v_add_f32_e32 v56, v56, v0
	v_add_f32_e32 v27, v27, v1
	;; [unrolled: 1-line block ×16, first 2 shown]
	v_sub_f32_e32 v28, v103, v28
	v_add_f32_e32 v1, v15, v1
	v_add_f32_e32 v0, v14, v0
	v_sub_f32_e32 v57, v114, v60
	v_add_f32_e32 v27, v29, v27
	v_add_f32_e32 v29, v31, v105
	v_add_f32_e32 v26, v28, v26
	v_sub_f32_e32 v28, v113, v30
	v_add_f32_e32 v1, v17, v1
	v_add_f32_e32 v0, v16, v0
	v_add_f32_e32 v56, v57, v56
	v_sub_f32_e32 v57, v108, v61
	v_add_f32_e32 v27, v29, v27
	v_add_f32_e32 v29, v35, v112
	v_add_f32_e32 v26, v28, v26
	v_sub_f32_e32 v28, v110, v34
	v_add_f32_e32 v1, v19, v1
	v_add_f32_e32 v0, v18, v0
	v_add_f32_e32 v56, v57, v56
	v_sub_f32_e32 v57, v99, v63
	v_add_f32_e32 v27, v29, v27
	v_add_f32_e32 v29, v39, v100
	v_add_f32_e32 v26, v28, v26
	v_sub_f32_e32 v28, v115, v38
	v_add_f32_e32 v1, v21, v1
	v_add_f32_e32 v0, v20, v0
	v_add_f32_e32 v56, v57, v56
	v_sub_f32_e32 v48, v48, v65
	v_add_f32_e32 v27, v29, v27
	v_add_f32_e32 v29, v47, v106
	v_add_f32_e32 v26, v28, v26
	v_sub_f32_e32 v28, v102, v44
	v_add_f32_e32 v1, v23, v1
	v_add_f32_e32 v0, v22, v0
	v_add_f32_e32 v48, v48, v56
	v_sub_f32_e32 v56, v82, v68
	v_add_f32_e32 v27, v29, v27
	v_add_f32_e32 v26, v28, v26
	v_add_f32_e32 v1, v25, v1
	;; [unrolled: 1-line block ×3, first 2 shown]
	v_lshlrev_b32_e32 v2, 3, v89
	v_add_f32_e32 v124, v124, v131
	v_add_f32_e32 v48, v56, v48
	ds_write2_b64 v2, v[0:1], v[26:27] offset1:1
	ds_write2_b64 v2, v[48:49], v[45:46] offset0:2 offset1:3
	ds_write2_b64 v2, v[42:43], v[40:41] offset0:4 offset1:5
	;; [unrolled: 1-line block ×5, first 2 shown]
	ds_write_b64 v2, v[32:33] offset:96
.LBB0_7:
	s_or_b64 exec, exec, s[2:3]
	v_add_u16_e32 v0, 0xb6, v88
	v_mul_u32_u24_e32 v1, 0x4ec5, v0
	v_lshrrev_b32_e32 v11, 18, v1
	v_mul_lo_u16_e32 v2, 13, v11
	v_sub_u16_e32 v38, v0, v2
	v_mul_lo_u16_e32 v2, 24, v38
	s_load_dwordx4 s[4:7], s[0:1], 0x0
	v_mov_b32_e32 v3, s9
	v_add_co_u32_e64 v2, s[0:1], s8, v2
	v_addc_co_u32_e64 v3, s[0:1], 0, v3, s[0:1]
	s_movk_i32 s0, 0x4f
	v_mul_lo_u16_sdwa v8, v88, s0 dst_sel:DWORD dst_unused:UNUSED_PAD src0_sel:BYTE_0 src1_sel:DWORD
	v_lshrrev_b16_e32 v6, 10, v8
	s_waitcnt lgkmcnt(0)
	s_barrier
	global_load_dwordx4 v[12:15], v[2:3], off
	global_load_dwordx2 v[59:60], v[2:3], off offset:16
	v_mul_lo_u16_e32 v2, 13, v6
	v_sub_u16_e32 v2, v88, v2
	v_and_b32_e32 v7, 0xff, v2
	v_mad_u64_u32 v[2:3], s[0:1], v7, 24, s[8:9]
	global_load_dwordx4 v[16:19], v[2:3], off
	global_load_dwordx2 v[61:62], v[2:3], off offset:16
	v_add_u32_e32 v9, 0xa00, v87
	v_add_u32_e32 v28, 0x2000, v87
	ds_read2_b64 v[2:5], v87 offset1:182
	v_add_u32_e32 v10, 0x1600, v87
	ds_read2_b64 v[20:23], v9 offset0:44 offset1:226
	ds_read2_b64 v[24:27], v10 offset0:24 offset1:206
	;; [unrolled: 1-line block ×3, first 2 shown]
	v_mul_u32_u24_e32 v6, 52, v6
	v_add_lshl_u32 v90, v6, v7, 3
	s_waitcnt vmcnt(0) lgkmcnt(0)
	s_barrier
	v_cmp_gt_u16_e64 s[0:1], 26, v88
                                        ; implicit-def: $vgpr63
	v_mul_f32_e32 v6, v23, v13
	v_mul_f32_e32 v9, v27, v15
	;; [unrolled: 1-line block ×6, first 2 shown]
	v_fma_f32 v6, v22, v12, -v6
	v_fma_f32 v9, v26, v14, -v9
	v_fmac_f32_e32 v10, v27, v14
	v_fma_f32 v22, v30, v59, -v34
	v_fmac_f32_e32 v7, v23, v12
	v_fmac_f32_e32 v35, v31, v59
	v_sub_f32_e32 v9, v4, v9
	v_sub_f32_e32 v10, v5, v10
	;; [unrolled: 1-line block ×3, first 2 shown]
	v_mul_f32_e32 v26, v21, v17
	v_mul_f32_e32 v27, v20, v17
	;; [unrolled: 1-line block ×6, first 2 shown]
	v_sub_f32_e32 v23, v7, v35
	v_fma_f32 v41, v4, 2.0, -v9
	v_fma_f32 v4, v6, 2.0, -v22
	v_add_f32_e32 v35, v10, v22
	v_fma_f32 v20, v20, v16, -v26
	v_fmac_f32_e32 v27, v21, v16
	v_fma_f32 v21, v24, v18, -v30
	v_fmac_f32_e32 v31, v25, v18
	;; [unrolled: 2-line block ×3, first 2 shown]
	v_fma_f32 v42, v5, 2.0, -v10
	v_fma_f32 v5, v7, 2.0, -v23
	v_sub_f32_e32 v34, v9, v23
	v_sub_f32_e32 v23, v2, v21
	;; [unrolled: 1-line block ×5, first 2 shown]
	v_fma_f32 v25, v2, 2.0, -v23
	v_fma_f32 v26, v3, 2.0, -v24
	;; [unrolled: 1-line block ×4, first 2 shown]
	v_sub_f32_e32 v2, v23, v22
	v_add_f32_e32 v3, v24, v21
	v_sub_f32_e32 v20, v25, v20
	v_sub_f32_e32 v21, v26, v27
	;; [unrolled: 1-line block ×4, first 2 shown]
	v_fma_f32 v22, v23, 2.0, -v2
	v_fma_f32 v23, v24, 2.0, -v3
	;; [unrolled: 1-line block ×4, first 2 shown]
	ds_write2_b64 v90, v[20:21], v[2:3] offset0:26 offset1:39
	ds_write2_b64 v90, v[24:25], v[22:23] offset1:13
	v_mad_legacy_u16 v2, v11, 52, v38
	v_fma_f32 v6, v9, 2.0, -v34
	v_fma_f32 v7, v10, 2.0, -v35
	;; [unrolled: 1-line block ×4, first 2 shown]
	v_lshlrev_b32_e32 v91, 3, v2
	v_add_u32_e32 v2, 0xc00, v87
	ds_write2_b64 v91, v[9:10], v[6:7] offset1:13
	ds_write2_b64 v91, v[4:5], v[34:35] offset0:26 offset1:39
	s_waitcnt lgkmcnt(0)
	s_barrier
	ds_read2_b64 v[42:45], v2 offset0:32 offset1:240
	v_add_u32_e32 v2, 0x1a00, v87
	ds_read2_b64 v[38:41], v87 offset1:208
	ds_read2_b64 v[46:49], v2 offset1:208
	ds_read_b64 v[56:57], v87 offset:9984
	s_and_saveexec_b64 s[2:3], s[0:1]
	s_cbranch_execz .LBB0_9
; %bb.8:
	v_add_u32_e32 v2, 0x1200, v87
	ds_read2_b64 v[2:5], v2 offset0:22 offset1:230
	v_add_u32_e32 v7, 0x1f00, v87
	v_add_u32_e32 v6, 0x500, v87
	ds_read2_b64 v[30:33], v7 offset0:22 offset1:230
	ds_read2_b64 v[34:37], v6 offset0:22 offset1:230
	ds_read_b64 v[63:64], v87 offset:11440
	s_waitcnt lgkmcnt(3)
	v_mov_b32_e32 v52, v4
	v_mov_b32_e32 v53, v5
	s_waitcnt lgkmcnt(2)
	v_mov_b32_e32 v50, v30
	v_mov_b32_e32 v51, v31
	v_mov_b32_e32 v54, v2
	v_mov_b32_e32 v55, v3
.LBB0_9:
	s_or_b64 exec, exec, s[2:3]
	v_lshrrev_b32_e32 v1, 20, v1
	v_mul_lo_u16_e32 v1, 52, v1
	v_lshrrev_b16_e32 v70, 12, v8
	v_sub_u16_e32 v69, v0, v1
	v_mul_lo_u16_e32 v8, 52, v70
	v_mul_lo_u16_e32 v0, 48, v69
	v_sub_u16_e32 v8, v88, v8
	v_mov_b32_e32 v1, s9
	v_add_co_u32_e64 v65, s[2:3], s8, v0
	v_and_b32_e32 v71, 0xff, v8
	v_addc_co_u32_e64 v66, s[2:3], 0, v1, s[2:3]
	v_mad_u64_u32 v[67:68], s[2:3], v71, 48, s[8:9]
	global_load_dwordx4 v[4:7], v[65:66], off offset:328
	global_load_dwordx4 v[0:3], v[65:66], off offset:344
	;; [unrolled: 1-line block ×6, first 2 shown]
	s_mov_b32 s2, 0x3f5ff5aa
	s_mov_b32 s3, 0x3f3bfb3b
	;; [unrolled: 1-line block ×4, first 2 shown]
	s_waitcnt vmcnt(0) lgkmcnt(0)
	s_barrier
	v_lshlrev_b32_e32 v92, 3, v69
	v_mul_f32_e32 v65, v53, v5
	v_mul_f32_e32 v67, v51, v7
	;; [unrolled: 1-line block ×8, first 2 shown]
	v_fma_f32 v65, v52, v4, -v65
	v_fma_f32 v67, v50, v6, -v67
	v_fmac_f32_e32 v68, v51, v6
	v_fmac_f32_e32 v73, v33, v0
	v_fma_f32 v33, v63, v2, -v74
	v_fmac_f32_e32 v75, v64, v2
	v_mul_f32_e32 v50, v41, v29
	v_mul_f32_e32 v51, v40, v29
	;; [unrolled: 1-line block ×7, first 2 shown]
	v_fmac_f32_e32 v66, v53, v4
	v_fma_f32 v32, v32, v0, -v72
	v_mul_f32_e32 v53, v42, v31
	v_mul_f32_e32 v72, v47, v27
	;; [unrolled: 1-line block ×4, first 2 shown]
	v_fma_f32 v40, v40, v28, -v50
	v_fmac_f32_e32 v51, v41, v28
	v_fma_f32 v41, v42, v30, -v52
	v_fma_f32 v42, v44, v24, -v63
	v_fmac_f32_e32 v64, v45, v24
	v_fma_f32 v44, v48, v20, -v76
	v_fma_f32 v45, v56, v22, -v78
	v_mul_f32_e32 v74, v46, v27
	v_fmac_f32_e32 v53, v43, v30
	v_fma_f32 v43, v46, v26, -v72
	v_fmac_f32_e32 v77, v49, v20
	v_fmac_f32_e32 v79, v57, v22
	v_add_f32_e32 v46, v40, v45
	v_add_f32_e32 v48, v41, v44
	v_mul_f32_e32 v81, v36, v9
	v_mul_f32_e32 v82, v55, v11
	v_fmac_f32_e32 v74, v47, v26
	v_add_f32_e32 v47, v51, v79
	v_add_f32_e32 v49, v53, v77
	;; [unrolled: 1-line block ×4, first 2 shown]
	v_mul_f32_e32 v80, v37, v9
	v_mul_f32_e32 v83, v54, v11
	v_fmac_f32_e32 v81, v37, v8
	v_fma_f32 v37, v54, v10, -v82
	v_sub_f32_e32 v40, v40, v45
	v_sub_f32_e32 v45, v51, v79
	;; [unrolled: 1-line block ×4, first 2 shown]
	v_add_f32_e32 v51, v64, v74
	v_sub_f32_e32 v42, v43, v42
	v_add_f32_e32 v53, v49, v47
	v_sub_f32_e32 v54, v48, v46
	v_sub_f32_e32 v46, v46, v50
	;; [unrolled: 1-line block ×3, first 2 shown]
	v_add_f32_e32 v50, v50, v52
	v_fmac_f32_e32 v83, v55, v10
	v_sub_f32_e32 v43, v74, v64
	v_sub_f32_e32 v55, v49, v47
	;; [unrolled: 1-line block ×4, first 2 shown]
	v_add_f32_e32 v56, v42, v41
	v_sub_f32_e32 v63, v42, v41
	v_sub_f32_e32 v72, v40, v42
	v_add_f32_e32 v51, v51, v53
	v_add_f32_e32 v42, v38, v50
	;; [unrolled: 1-line block ×3, first 2 shown]
	v_sub_f32_e32 v64, v43, v44
	v_sub_f32_e32 v74, v45, v43
	;; [unrolled: 1-line block ×3, first 2 shown]
	v_add_f32_e32 v40, v56, v40
	v_add_f32_e32 v43, v39, v51
	v_mul_f32_e32 v56, 0xbf08b237, v63
	v_mov_b32_e32 v63, v42
	v_sub_f32_e32 v44, v44, v45
	v_add_f32_e32 v45, v57, v45
	v_mul_f32_e32 v38, 0x3f4a47b2, v46
	v_mul_f32_e32 v46, 0x3d64c772, v48
	;; [unrolled: 1-line block ×3, first 2 shown]
	v_fmac_f32_e32 v63, 0xbf955555, v50
	v_mov_b32_e32 v50, v43
	v_mul_f32_e32 v39, 0x3f4a47b2, v47
	v_mul_f32_e32 v47, 0x3d64c772, v49
	;; [unrolled: 1-line block ×4, first 2 shown]
	v_fmac_f32_e32 v50, 0xbf955555, v51
	v_fma_f32 v46, v54, s3, -v46
	v_fma_f32 v51, v54, s10, -v38
	v_fmac_f32_e32 v38, 0x3d64c772, v48
	v_fma_f32 v54, v44, s2, -v57
	v_fmac_f32_e32 v57, 0x3eae86e6, v74
	v_fma_f32 v36, v36, v8, -v80
	v_fma_f32 v47, v55, s3, -v47
	;; [unrolled: 1-line block ×3, first 2 shown]
	v_fmac_f32_e32 v39, 0x3d64c772, v49
	v_fma_f32 v41, v41, s2, -v56
	v_fmac_f32_e32 v56, 0x3eae86e6, v72
	v_fma_f32 v55, v72, s11, -v52
	v_fma_f32 v52, v74, s11, -v53
	v_add_f32_e32 v38, v38, v63
	v_add_f32_e32 v53, v46, v63
	v_fmac_f32_e32 v57, 0x3ee1c552, v45
	v_fmac_f32_e32 v54, 0x3ee1c552, v45
	v_add_f32_e32 v39, v39, v50
	v_add_f32_e32 v64, v47, v50
	;; [unrolled: 1-line block ×4, first 2 shown]
	v_fmac_f32_e32 v56, 0x3ee1c552, v40
	v_fmac_f32_e32 v41, 0x3ee1c552, v40
	;; [unrolled: 1-line block ×4, first 2 shown]
	v_add_f32_e32 v44, v57, v38
	v_sub_f32_e32 v48, v53, v54
	v_add_f32_e32 v50, v54, v53
	v_sub_f32_e32 v54, v38, v57
	v_add_f32_e32 v38, v36, v33
	v_add_f32_e32 v40, v37, v32
	v_sub_f32_e32 v45, v39, v56
	v_add_f32_e32 v46, v52, v63
	v_sub_f32_e32 v47, v72, v55
	;; [unrolled: 2-line block ×3, first 2 shown]
	v_sub_f32_e32 v52, v63, v52
	v_add_f32_e32 v53, v55, v72
	v_add_f32_e32 v55, v56, v39
	;; [unrolled: 1-line block ×4, first 2 shown]
	v_sub_f32_e32 v32, v37, v32
	v_add_f32_e32 v56, v65, v67
	v_sub_f32_e32 v63, v67, v65
	v_add_f32_e32 v65, v40, v38
	v_sub_f32_e32 v33, v36, v33
	v_sub_f32_e32 v37, v83, v73
	v_add_f32_e32 v57, v66, v68
	v_sub_f32_e32 v64, v68, v66
	v_add_f32_e32 v66, v41, v39
	v_sub_f32_e32 v67, v40, v38
	v_sub_f32_e32 v38, v38, v56
	;; [unrolled: 1-line block ×3, first 2 shown]
	v_add_f32_e32 v40, v63, v32
	v_add_f32_e32 v56, v56, v65
	v_sub_f32_e32 v36, v81, v75
	v_sub_f32_e32 v68, v41, v39
	;; [unrolled: 1-line block ×4, first 2 shown]
	v_add_f32_e32 v41, v64, v37
	v_sub_f32_e32 v74, v63, v32
	v_sub_f32_e32 v63, v33, v63
	;; [unrolled: 1-line block ×3, first 2 shown]
	v_add_f32_e32 v57, v57, v66
	v_add_f32_e32 v33, v40, v33
	;; [unrolled: 1-line block ×3, first 2 shown]
	v_sub_f32_e32 v75, v64, v37
	v_sub_f32_e32 v64, v36, v64
	;; [unrolled: 1-line block ×3, first 2 shown]
	v_add_f32_e32 v36, v41, v36
	v_add_f32_e32 v41, v35, v57
	v_mov_b32_e32 v76, v40
	v_mul_f32_e32 v34, 0x3f4a47b2, v38
	v_mul_f32_e32 v35, 0x3f4a47b2, v39
	;; [unrolled: 1-line block ×6, first 2 shown]
	v_fmac_f32_e32 v76, 0xbf955555, v56
	v_mov_b32_e32 v56, v41
	v_fmac_f32_e32 v56, 0xbf955555, v57
	v_fma_f32 v38, v67, s3, -v38
	v_fma_f32 v39, v68, s3, -v39
	;; [unrolled: 1-line block ×4, first 2 shown]
	v_fmac_f32_e32 v35, 0x3d64c772, v73
	v_fma_f32 v68, v32, s2, -v65
	v_fmac_f32_e32 v65, 0x3eae86e6, v63
	v_fma_f32 v63, v63, s11, -v74
	v_mul_f32_e32 v66, 0xbf08b237, v75
	v_mul_f32_e32 v75, 0x3f5ff5aa, v37
	v_add_f32_e32 v74, v35, v56
	v_add_f32_e32 v39, v39, v56
	;; [unrolled: 1-line block ×3, first 2 shown]
	v_fmac_f32_e32 v63, 0x3ee1c552, v33
	v_fmac_f32_e32 v34, 0x3d64c772, v72
	v_fma_f32 v72, v37, s2, -v66
	v_fmac_f32_e32 v66, 0x3eae86e6, v64
	v_fma_f32 v64, v64, s11, -v75
	v_sub_f32_e32 v35, v56, v63
	v_add_f32_e32 v78, v63, v56
	v_mul_u32_u24_e32 v56, 0x16c, v70
	v_add_f32_e32 v73, v34, v76
	v_add_f32_e32 v38, v38, v76
	;; [unrolled: 1-line block ×3, first 2 shown]
	v_fmac_f32_e32 v65, 0x3ee1c552, v33
	v_fmac_f32_e32 v66, 0x3ee1c552, v36
	;; [unrolled: 1-line block ×5, first 2 shown]
	v_add_lshl_u32 v93, v56, v71, 3
	v_add_f32_e32 v32, v66, v73
	v_sub_f32_e32 v33, v74, v65
	v_add_f32_e32 v34, v64, v57
	v_sub_f32_e32 v36, v38, v72
	v_add_f32_e32 v37, v68, v39
	v_add_f32_e32 v38, v72, v38
	v_sub_f32_e32 v39, v39, v68
	v_sub_f32_e32 v77, v57, v64
	;; [unrolled: 1-line block ×3, first 2 shown]
	v_add_f32_e32 v76, v65, v74
	ds_write2_b64 v93, v[42:43], v[44:45] offset1:52
	ds_write2_b64 v93, v[46:47], v[48:49] offset0:104 offset1:156
	v_add_u32_e32 v42, 0x400, v93
	ds_write2_b64 v42, v[50:51], v[52:53] offset0:80 offset1:132
	ds_write_b64 v93, v[54:55] offset:2496
	s_and_saveexec_b64 s[2:3], s[0:1]
	s_cbranch_execz .LBB0_11
; %bb.10:
	v_add_u32_e32 v42, 0x2000, v92
	ds_write2_b64 v42, v[40:41], v[32:33] offset0:68 offset1:120
	ds_write2_b64 v42, v[34:35], v[36:37] offset0:172 offset1:224
	v_add_u32_e32 v40, 0x2800, v92
	ds_write2_b64 v40, v[38:39], v[77:78] offset0:20 offset1:72
	ds_write_b64 v92, v[75:76] offset:11232
.LBB0_11:
	s_or_b64 exec, exec, s[2:3]
	v_mov_b32_e32 v40, s9
	v_add_co_u32_e64 v71, s[2:3], s8, v87
	v_addc_co_u32_e64 v72, s[2:3], 0, v40, s[2:3]
	s_movk_i32 s17, 0x1000
	s_waitcnt lgkmcnt(0)
	s_barrier
	global_load_dwordx2 v[63:64], v87, s[8:9] offset:2808
	v_add_co_u32_e64 v56, s[2:3], s17, v71
	v_addc_co_u32_e64 v57, s[2:3], 0, v72, s[2:3]
	global_load_dwordx2 v[65:66], v[56:57], off offset:168
	v_add_u32_e32 v94, 0x1600, v87
	ds_read2_b64 v[40:43], v87 offset1:182
	v_add_u32_e32 v95, 0xa00, v87
	v_add_u32_e32 v96, 0x2000, v87
	ds_read2_b64 v[44:47], v94 offset0:24 offset1:206
	ds_read2_b64 v[48:51], v95 offset0:44 offset1:226
	;; [unrolled: 1-line block ×3, first 2 shown]
	s_movk_i32 s16, 0x2000
	s_waitcnt vmcnt(0) lgkmcnt(0)
	s_barrier
	v_mul_f32_e32 v68, v44, v64
	v_mul_f32_e32 v70, v52, v64
	;; [unrolled: 1-line block ×4, first 2 shown]
	v_fmac_f32_e32 v68, v45, v63
	v_fmac_f32_e32 v70, v53, v63
	v_fma_f32 v44, v44, v63, -v67
	v_fma_f32 v52, v52, v63, -v69
	v_sub_f32_e32 v45, v41, v68
	v_sub_f32_e32 v53, v49, v70
	v_mul_f32_e32 v67, v47, v66
	v_mul_f32_e32 v68, v46, v66
	;; [unrolled: 1-line block ×4, first 2 shown]
	v_sub_f32_e32 v44, v40, v44
	v_fma_f32 v46, v46, v65, -v67
	v_fmac_f32_e32 v68, v47, v65
	v_fma_f32 v54, v54, v65, -v69
	v_fmac_f32_e32 v70, v55, v65
	v_sub_f32_e32 v52, v48, v52
	v_fma_f32 v40, v40, 2.0, -v44
	v_sub_f32_e32 v46, v42, v46
	v_sub_f32_e32 v47, v43, v68
	;; [unrolled: 1-line block ×4, first 2 shown]
	v_fma_f32 v41, v41, 2.0, -v45
	v_fma_f32 v48, v48, 2.0, -v52
	;; [unrolled: 1-line block ×7, first 2 shown]
	ds_write2_b64 v95, v[44:45], v[46:47] offset0:44 offset1:226
	ds_write2_b64 v96, v[52:53], v[54:55] offset0:68 offset1:250
	ds_write2_b64 v87, v[40:41], v[42:43] offset1:182
	ds_write2_b64 v94, v[48:49], v[50:51] offset0:24 offset1:206
	v_add_co_u32_e64 v40, s[2:3], s16, v71
	v_addc_co_u32_e64 v41, s[2:3], 0, v72, s[2:3]
	s_waitcnt lgkmcnt(0)
	s_barrier
	global_load_dwordx2 v[67:68], v[56:57], off offset:1624
	global_load_dwordx2 v[69:70], v[56:57], off offset:3080
	;; [unrolled: 1-line block ×4, first 2 shown]
	ds_read2_b64 v[40:43], v94 offset0:24 offset1:206
	ds_read2_b64 v[79:82], v87 offset1:182
	ds_read2_b64 v[83:86], v95 offset0:44 offset1:226
	ds_read2_b64 v[44:47], v96 offset0:68 offset1:250
	s_waitcnt vmcnt(3) lgkmcnt(3)
	v_mul_f32_e32 v48, v41, v68
	v_mul_f32_e32 v49, v40, v68
	s_waitcnt vmcnt(2)
	v_mul_f32_e32 v50, v43, v70
	v_mul_f32_e32 v51, v42, v70
	s_waitcnt vmcnt(1) lgkmcnt(0)
	v_mul_f32_e32 v52, v45, v72
	v_mul_f32_e32 v53, v44, v72
	s_waitcnt vmcnt(0)
	v_mul_f32_e32 v54, v47, v74
	v_mul_f32_e32 v55, v46, v74
	v_fma_f32 v40, v40, v67, -v48
	v_fmac_f32_e32 v49, v41, v67
	v_fma_f32 v41, v42, v69, -v50
	v_fmac_f32_e32 v51, v43, v69
	;; [unrolled: 2-line block ×4, first 2 shown]
	v_sub_f32_e32 v42, v79, v40
	v_sub_f32_e32 v43, v80, v49
	v_sub_f32_e32 v46, v81, v41
	v_sub_f32_e32 v47, v82, v51
	v_sub_f32_e32 v50, v83, v44
	v_sub_f32_e32 v51, v84, v53
	v_sub_f32_e32 v54, v85, v45
	v_sub_f32_e32 v55, v86, v55
	v_fma_f32 v40, v79, 2.0, -v42
	v_fma_f32 v41, v80, 2.0, -v43
	;; [unrolled: 1-line block ×8, first 2 shown]
	ds_write2_b64 v94, v[42:43], v[46:47] offset0:24 offset1:206
	ds_write2_b64 v96, v[50:51], v[54:55] offset0:68 offset1:250
	ds_write2_b64 v87, v[40:41], v[44:45] offset1:182
	ds_write2_b64 v95, v[48:49], v[52:53] offset0:44 offset1:226
	s_waitcnt lgkmcnt(0)
	s_barrier
	s_and_saveexec_b64 s[8:9], vcc
	s_cbranch_execz .LBB0_13
; %bb.12:
	s_add_u32 s10, s14, 0x2d80
	s_addc_u32 s11, s15, 0
	global_load_dwordx2 v[56:57], v87, s[10:11]
	v_mov_b32_e32 v79, s11
	v_add_co_u32_e64 v81, s[2:3], s10, v87
	v_addc_co_u32_e64 v82, s[2:3], 0, v79, s[2:3]
	v_add_co_u32_e64 v79, s[2:3], s17, v81
	v_addc_co_u32_e64 v80, s[2:3], 0, v82, s[2:3]
	global_load_dwordx2 v[110:111], v87, s[10:11] offset:896
	global_load_dwordx2 v[112:113], v87, s[10:11] offset:1792
	;; [unrolled: 1-line block ×4, first 2 shown]
	global_load_dwordx2 v[118:119], v[79:80], off offset:384
	v_or_b32_e32 v83, 0x1c00, v87
	global_load_dwordx2 v[120:121], v[79:80], off offset:1280
	global_load_dwordx2 v[122:123], v83, s[10:11]
	global_load_dwordx2 v[124:125], v[79:80], off offset:2176
	global_load_dwordx2 v[126:127], v[79:80], off offset:3968
	v_add_co_u32_e64 v79, s[2:3], s16, v81
	v_addc_co_u32_e64 v80, s[2:3], 0, v82, s[2:3]
	global_load_dwordx2 v[128:129], v[79:80], off offset:768
	global_load_dwordx2 v[130:131], v[79:80], off offset:1664
	;; [unrolled: 1-line block ×3, first 2 shown]
	ds_read_b64 v[79:80], v87
	v_add_u32_e32 v134, 0x800, v87
	v_add_u32_e32 v135, 0x1000, v87
	;; [unrolled: 1-line block ×5, first 2 shown]
	s_waitcnt vmcnt(12) lgkmcnt(0)
	v_mul_f32_e32 v81, v80, v57
	v_mul_f32_e32 v82, v79, v57
	v_fma_f32 v81, v79, v56, -v81
	v_fmac_f32_e32 v82, v80, v56
	ds_write_b64 v87, v[81:82]
	ds_read2_b64 v[79:82], v87 offset0:112 offset1:224
	ds_read2_b64 v[83:86], v134 offset0:80 offset1:192
	;; [unrolled: 1-line block ×6, first 2 shown]
	s_waitcnt vmcnt(11) lgkmcnt(5)
	v_mul_f32_e32 v56, v80, v111
	v_mul_f32_e32 v57, v79, v111
	s_waitcnt vmcnt(10)
	v_mul_f32_e32 v139, v82, v113
	v_mul_f32_e32 v111, v81, v113
	s_waitcnt vmcnt(9) lgkmcnt(4)
	v_mul_f32_e32 v140, v84, v115
	v_mul_f32_e32 v113, v83, v115
	s_waitcnt vmcnt(8)
	v_mul_f32_e32 v141, v86, v117
	v_mul_f32_e32 v115, v85, v117
	;; [unrolled: 6-line block ×3, first 2 shown]
	s_waitcnt vmcnt(4) lgkmcnt(2)
	v_mul_f32_e32 v144, v99, v125
	v_mul_f32_e32 v121, v98, v125
	v_mul_f32_e32 v145, v101, v123
	v_mul_f32_e32 v125, v100, v123
	s_waitcnt vmcnt(3) lgkmcnt(1)
	v_mul_f32_e32 v146, v103, v127
	v_mul_f32_e32 v123, v102, v127
	s_waitcnt vmcnt(2)
	v_mul_f32_e32 v147, v105, v129
	v_mul_f32_e32 v127, v104, v129
	v_fma_f32 v56, v79, v110, -v56
	v_fmac_f32_e32 v57, v80, v110
	v_fma_f32 v110, v81, v112, -v139
	v_fmac_f32_e32 v111, v82, v112
	s_waitcnt vmcnt(1) lgkmcnt(0)
	v_mul_f32_e32 v129, v107, v131
	v_fma_f32 v112, v83, v114, -v140
	v_fmac_f32_e32 v113, v84, v114
	v_fma_f32 v114, v85, v116, -v141
	v_fmac_f32_e32 v115, v86, v116
	;; [unrolled: 2-line block ×8, first 2 shown]
	ds_write2_b64 v87, v[56:57], v[110:111] offset0:112 offset1:224
	ds_write2_b64 v134, v[112:113], v[114:115] offset0:80 offset1:192
	;; [unrolled: 1-line block ×5, first 2 shown]
	v_mul_f32_e32 v80, v106, v131
	s_waitcnt vmcnt(0)
	v_mul_f32_e32 v56, v109, v133
	v_mul_f32_e32 v57, v108, v133
	v_fma_f32 v79, v106, v130, -v129
	v_fmac_f32_e32 v80, v107, v130
	v_fma_f32 v56, v108, v132, -v56
	v_fmac_f32_e32 v57, v109, v132
	ds_write2_b64 v138, v[79:80], v[56:57] offset0:80 offset1:192
.LBB0_13:
	s_or_b64 exec, exec, s[8:9]
	s_waitcnt lgkmcnt(0)
	s_barrier
	s_and_saveexec_b64 s[2:3], vcc
	s_cbranch_execz .LBB0_15
; %bb.14:
	v_add_u32_e32 v32, 0x400, v87
	ds_read2_b64 v[44:47], v32 offset0:96 offset1:208
	v_add_u32_e32 v32, 0xc00, v87
	ds_read2_b64 v[48:51], v32 offset0:64 offset1:176
	;; [unrolled: 2-line block ×3, first 2 shown]
	v_add_u32_e32 v32, 0x1800, v87
	v_add_u32_e32 v36, 0x2000, v87
	ds_read2_b64 v[40:43], v87 offset1:112
	ds_read2_b64 v[32:35], v32 offset0:128 offset1:240
	ds_read2_b64 v[36:39], v36 offset0:96 offset1:208
	ds_read_b64 v[77:78], v87 offset:10752
.LBB0_15:
	s_or_b64 exec, exec, s[2:3]
	s_waitcnt lgkmcnt(0)
	v_sub_f32_e32 v123, v43, v78
	v_add_f32_e32 v112, v77, v42
	v_add_f32_e32 v116, v78, v43
	s_mov_b32 s8, 0x3f62ad3f
	v_mul_f32_e32 v94, 0xbeedf032, v123
	v_sub_f32_e32 v138, v45, v39
	v_mul_f32_e32 v95, 0x3f62ad3f, v116
	v_fma_f32 v56, v112, s8, -v94
	s_mov_b32 s9, 0x3f116cb1
	v_add_f32_e32 v126, v38, v44
	v_add_f32_e32 v130, v39, v45
	v_mul_f32_e32 v97, 0xbf52af12, v138
	v_sub_f32_e32 v131, v42, v77
	v_add_f32_e32 v56, v40, v56
	v_mov_b32_e32 v57, v95
	v_mul_f32_e32 v99, 0x3f116cb1, v130
	v_fma_f32 v101, v126, s9, -v97
	v_fmac_f32_e32 v57, 0xbeedf032, v131
	v_sub_f32_e32 v147, v44, v38
	v_add_f32_e32 v56, v101, v56
	v_mov_b32_e32 v101, v99
	v_add_f32_e32 v57, v41, v57
	v_mul_f32_e32 v96, 0xbf52af12, v123
	v_fmac_f32_e32 v101, 0xbf52af12, v147
	v_mul_f32_e32 v98, 0x3f116cb1, v116
	v_fma_f32 v79, v112, s9, -v96
	s_mov_b32 s11, 0xbeb58ec6
	v_add_f32_e32 v57, v101, v57
	v_mul_f32_e32 v101, 0xbf6f5d39, v138
	v_add_f32_e32 v79, v40, v79
	v_mov_b32_e32 v80, v98
	v_mul_f32_e32 v104, 0xbeb58ec6, v130
	v_fma_f32 v103, v126, s11, -v101
	v_fmac_f32_e32 v80, 0xbf52af12, v131
	s_mov_b32 s10, 0x3df6dbef
	v_mul_f32_e32 v100, 0xbf7e222b, v123
	v_add_f32_e32 v79, v103, v79
	v_mov_b32_e32 v103, v104
	v_add_f32_e32 v80, v41, v80
	v_mul_f32_e32 v102, 0x3df6dbef, v116
	v_fma_f32 v81, v112, s10, -v100
	v_fmac_f32_e32 v103, 0xbf6f5d39, v147
	s_mov_b32 s17, 0xbf788fa5
	v_mul_f32_e32 v107, 0xbe750f2a, v138
	v_add_f32_e32 v81, v40, v81
	v_mov_b32_e32 v82, v102
	v_add_f32_e32 v80, v103, v80
	v_mul_f32_e32 v111, 0xbf788fa5, v130
	v_fma_f32 v103, v126, s17, -v107
	v_fmac_f32_e32 v82, 0xbf7e222b, v131
	v_mul_f32_e32 v106, 0xbf6f5d39, v123
	v_add_f32_e32 v81, v103, v81
	v_mov_b32_e32 v103, v111
	v_add_f32_e32 v82, v41, v82
	v_mul_f32_e32 v108, 0xbeb58ec6, v116
	v_fma_f32 v83, v112, s11, -v106
	s_mov_b32 s16, 0xbf3f9e67
	v_fmac_f32_e32 v103, 0xbe750f2a, v147
	v_mul_f32_e32 v117, 0x3f29c268, v138
	v_add_f32_e32 v83, v40, v83
	v_mov_b32_e32 v84, v108
	v_add_f32_e32 v82, v103, v82
	v_mul_f32_e32 v121, 0xbf3f9e67, v130
	v_fma_f32 v103, v126, s16, -v117
	v_fmac_f32_e32 v84, 0xbf6f5d39, v131
	v_mul_f32_e32 v114, 0xbf29c268, v123
	v_add_f32_e32 v83, v103, v83
	v_mov_b32_e32 v103, v121
	v_add_f32_e32 v84, v41, v84
	v_mul_f32_e32 v118, 0xbf3f9e67, v116
	v_fma_f32 v85, v112, s16, -v114
	;; [unrolled: 7-line block ×3, first 2 shown]
	v_fmac_f32_e32 v86, 0xbf29c268, v131
	v_add_f32_e32 v85, v103, v85
	v_mov_b32_e32 v103, v133
	v_add_f32_e32 v86, v41, v86
	v_fmac_f32_e32 v103, 0x3f7e222b, v147
	v_sub_f32_e32 v151, v47, v37
	v_add_f32_e32 v86, v103, v86
	v_add_f32_e32 v140, v36, v46
	v_add_f32_e32 v144, v37, v47
	v_mul_f32_e32 v103, 0xbf7e222b, v151
	v_mul_f32_e32 v105, 0x3df6dbef, v144
	v_fma_f32 v109, v140, s10, -v103
	v_sub_f32_e32 v158, v46, v36
	v_add_f32_e32 v56, v109, v56
	v_mov_b32_e32 v109, v105
	v_fmac_f32_e32 v109, 0xbf7e222b, v158
	v_add_f32_e32 v57, v109, v57
	v_mul_f32_e32 v109, 0xbe750f2a, v151
	v_mul_f32_e32 v113, 0xbf788fa5, v144
	v_fma_f32 v110, v140, s17, -v109
	v_add_f32_e32 v79, v110, v79
	v_mov_b32_e32 v110, v113
	v_fmac_f32_e32 v110, 0xbe750f2a, v158
	v_mul_f32_e32 v119, 0x3f6f5d39, v151
	v_add_f32_e32 v80, v110, v80
	v_mul_f32_e32 v124, 0xbeb58ec6, v144
	v_fma_f32 v110, v140, s11, -v119
	v_add_f32_e32 v81, v110, v81
	v_mov_b32_e32 v110, v124
	v_fmac_f32_e32 v110, 0x3f6f5d39, v158
	v_mul_f32_e32 v129, 0x3eedf032, v151
	v_add_f32_e32 v82, v110, v82
	v_mul_f32_e32 v135, 0x3f62ad3f, v144
	v_fma_f32 v110, v140, s8, -v129
	v_add_f32_e32 v83, v110, v83
	v_mov_b32_e32 v110, v135
	v_fmac_f32_e32 v110, 0x3eedf032, v158
	v_mul_f32_e32 v141, 0xbf52af12, v151
	v_add_f32_e32 v84, v110, v84
	v_mul_f32_e32 v146, 0x3f116cb1, v144
	v_fma_f32 v110, v140, s9, -v141
	v_add_f32_e32 v85, v110, v85
	v_mov_b32_e32 v110, v146
	v_fmac_f32_e32 v110, 0xbf52af12, v158
	v_sub_f32_e32 v162, v49, v35
	v_add_f32_e32 v86, v110, v86
	v_add_f32_e32 v152, v34, v48
	v_add_f32_e32 v156, v35, v49
	v_mul_f32_e32 v110, 0xbf6f5d39, v162
	v_mul_f32_e32 v115, 0xbeb58ec6, v156
	v_fma_f32 v120, v152, s11, -v110
	v_sub_f32_e32 v166, v48, v34
	v_add_f32_e32 v56, v120, v56
	v_mov_b32_e32 v120, v115
	v_fmac_f32_e32 v120, 0xbf6f5d39, v166
	v_add_f32_e32 v57, v120, v57
	v_mul_f32_e32 v120, 0x3f29c268, v162
	v_mul_f32_e32 v125, 0xbf3f9e67, v156
	v_fma_f32 v122, v152, s16, -v120
	v_add_f32_e32 v79, v122, v79
	v_mov_b32_e32 v122, v125
	v_fmac_f32_e32 v122, 0x3f29c268, v166
	v_mul_f32_e32 v132, 0x3eedf032, v162
	v_add_f32_e32 v80, v122, v80
	v_mul_f32_e32 v137, 0x3f62ad3f, v156
	v_fma_f32 v122, v152, s8, -v132
	v_add_f32_e32 v81, v122, v81
	v_mov_b32_e32 v122, v137
	v_fmac_f32_e32 v122, 0x3eedf032, v166
	v_mul_f32_e32 v143, 0xbf7e222b, v162
	v_add_f32_e32 v82, v122, v82
	v_mul_f32_e32 v149, 0x3df6dbef, v156
	v_fma_f32 v122, v152, s10, -v143
	v_add_f32_e32 v83, v122, v83
	v_mov_b32_e32 v122, v149
	v_fmac_f32_e32 v122, 0xbf7e222b, v166
	v_mul_f32_e32 v154, 0x3e750f2a, v162
	v_add_f32_e32 v84, v122, v84
	v_mul_f32_e32 v159, 0xbf788fa5, v156
	v_fma_f32 v122, v152, s17, -v154
	v_add_f32_e32 v85, v122, v85
	v_mov_b32_e32 v122, v159
	;; [unrolled: 39-line block ×3, first 2 shown]
	v_fmac_f32_e32 v136, 0x3eedf032, v173
	v_sub_f32_e32 v176, v53, v55
	v_add_f32_e32 v86, v136, v86
	v_add_f32_e32 v171, v54, v52
	;; [unrolled: 1-line block ×3, first 2 shown]
	v_mul_f32_e32 v136, 0xbe750f2a, v176
	v_mul_f32_e32 v142, 0xbf788fa5, v174
	v_fma_f32 v148, v171, s17, -v136
	v_sub_f32_e32 v177, v52, v54
	v_add_f32_e32 v56, v148, v56
	v_mov_b32_e32 v148, v142
	v_fmac_f32_e32 v148, 0xbe750f2a, v177
	v_add_f32_e32 v57, v148, v57
	v_mul_f32_e32 v148, 0x3eedf032, v176
	v_mul_f32_e32 v153, 0x3f62ad3f, v174
	v_fma_f32 v157, v171, s8, -v148
	v_add_f32_e32 v79, v157, v79
	v_mov_b32_e32 v157, v153
	v_fmac_f32_e32 v157, 0x3eedf032, v177
	v_add_f32_e32 v80, v157, v80
	v_mul_f32_e32 v157, 0xbf29c268, v176
	v_mul_f32_e32 v161, 0xbf3f9e67, v174
	v_fma_f32 v165, v171, s16, -v157
	;; [unrolled: 7-line block ×4, first 2 shown]
	v_add_f32_e32 v85, v178, v85
	v_mov_b32_e32 v178, v175
	v_fmac_f32_e32 v178, 0xbf6f5d39, v177
	v_add_f32_e32 v86, v178, v86
	s_barrier
	s_and_saveexec_b64 s[2:3], vcc
	s_cbranch_execz .LBB0_17
; %bb.16:
	v_mul_f32_e32 v179, 0xbeedf032, v131
	v_mul_f32_e32 v181, 0xbf52af12, v131
	;; [unrolled: 1-line block ×11, first 2 shown]
	v_mov_b32_e32 v238, v131
	v_mul_f32_e32 v147, 0x3eedf032, v147
	v_fmac_f32_e32 v238, 0xbf788fa5, v116
	v_mov_b32_e32 v239, v147
	v_mul_f32_e32 v199, 0xbf7e222b, v158
	v_mul_f32_e32 v201, 0xbe750f2a, v158
	;; [unrolled: 1-line block ×5, first 2 shown]
	v_add_f32_e32 v238, v41, v238
	v_fmac_f32_e32 v239, 0x3f62ad3f, v130
	v_mul_f32_e32 v158, 0xbf29c268, v158
	v_add_f32_e32 v238, v239, v238
	v_mov_b32_e32 v239, v158
	v_mul_f32_e32 v209, 0xbf6f5d39, v166
	v_mul_f32_e32 v211, 0x3f29c268, v166
	;; [unrolled: 1-line block ×5, first 2 shown]
	v_fmac_f32_e32 v239, 0xbf3f9e67, v144
	v_mul_f32_e32 v166, 0x3f52af12, v166
	v_add_f32_e32 v238, v239, v238
	v_mov_b32_e32 v239, v166
	v_mul_f32_e32 v219, 0xbf29c268, v173
	v_mul_f32_e32 v221, 0x3f7e222b, v173
	;; [unrolled: 1-line block ×5, first 2 shown]
	v_fmac_f32_e32 v239, 0x3f116cb1, v156
	v_mul_f32_e32 v173, 0xbf6f5d39, v173
	v_add_f32_e32 v238, v239, v238
	v_mov_b32_e32 v239, v173
	v_fmac_f32_e32 v239, 0xbeb58ec6, v167
	v_add_f32_e32 v238, v239, v238
	v_mul_f32_e32 v239, 0x3f7e222b, v177
	v_mul_f32_e32 v229, 0xbe750f2a, v177
	;; [unrolled: 1-line block ×6, first 2 shown]
	v_mov_b32_e32 v177, v239
	v_fmac_f32_e32 v177, 0x3df6dbef, v174
	v_mul_f32_e32 v123, 0xbe750f2a, v123
	v_add_f32_e32 v177, v177, v238
	v_fma_f32 v238, v112, s17, -v123
	v_mul_f32_e32 v138, 0x3eedf032, v138
	v_add_f32_e32 v238, v40, v238
	v_fma_f32 v240, v126, s8, -v138
	v_mul_f32_e32 v151, 0xbf29c268, v151
	v_fma_f32 v116, v116, s17, -v131
	v_fmac_f32_e32 v123, 0xbf788fa5, v112
	v_mul_f32_e32 v178, 0x3f62ad3f, v112
	v_mul_f32_e32 v180, 0x3f116cb1, v112
	;; [unrolled: 1-line block ×5, first 2 shown]
	v_add_f32_e32 v238, v240, v238
	v_fma_f32 v240, v140, s16, -v151
	v_mul_f32_e32 v162, 0x3f52af12, v162
	v_add_f32_e32 v116, v41, v116
	v_fma_f32 v130, v130, s8, -v147
	v_add_f32_e32 v112, v40, v123
	v_fmac_f32_e32 v138, 0x3f62ad3f, v126
	v_add_f32_e32 v238, v240, v238
	v_fma_f32 v240, v152, s9, -v162
	v_mul_f32_e32 v170, 0xbf6f5d39, v170
	v_add_f32_e32 v116, v130, v116
	v_fma_f32 v130, v144, s16, -v158
	v_add_f32_e32 v112, v138, v112
	v_fmac_f32_e32 v151, 0xbf3f9e67, v140
	v_add_f32_e32 v238, v240, v238
	v_fma_f32 v240, v163, s11, -v170
	v_add_f32_e32 v116, v130, v116
	v_fma_f32 v130, v156, s9, -v166
	v_add_f32_e32 v112, v151, v112
	v_fmac_f32_e32 v162, 0x3f116cb1, v152
	v_add_f32_e32 v238, v240, v238
	v_mul_f32_e32 v240, 0x3f7e222b, v176
	v_add_f32_e32 v116, v130, v116
	v_fma_f32 v130, v167, s11, -v173
	v_add_f32_e32 v112, v162, v112
	v_fmac_f32_e32 v170, 0xbeb58ec6, v163
	v_fma_f32 v176, v171, s10, -v240
	v_add_f32_e32 v116, v130, v116
	v_fma_f32 v130, v174, s10, -v239
	v_add_f32_e32 v112, v170, v112
	v_fmac_f32_e32 v240, 0x3df6dbef, v171
	v_add_f32_e32 v131, v130, v116
	v_add_f32_e32 v130, v240, v112
	v_sub_f32_e32 v112, v118, v187
	v_add_f32_e32 v112, v41, v112
	v_sub_f32_e32 v116, v133, v197
	;; [unrolled: 2-line block ×6, first 2 shown]
	v_mul_f32_e32 v196, 0x3df6dbef, v126
	v_add_f32_e32 v147, v116, v112
	v_add_f32_e32 v112, v186, v114
	v_mul_f32_e32 v206, 0x3f116cb1, v140
	v_add_f32_e32 v112, v40, v112
	v_add_f32_e32 v114, v196, v127
	v_mul_f32_e32 v216, 0xbf788fa5, v152
	v_add_f32_e32 v112, v114, v112
	v_add_f32_e32 v114, v206, v141
	v_mul_f32_e32 v226, 0x3f62ad3f, v163
	v_add_f32_e32 v112, v114, v112
	v_add_f32_e32 v114, v216, v154
	v_mul_f32_e32 v236, 0xbeb58ec6, v171
	v_add_f32_e32 v112, v114, v112
	v_add_f32_e32 v114, v226, v164
	v_add_f32_e32 v112, v114, v112
	v_add_f32_e32 v114, v236, v172
	v_sub_f32_e32 v108, v108, v185
	v_add_f32_e32 v146, v114, v112
	v_add_f32_e32 v108, v41, v108
	v_sub_f32_e32 v112, v121, v195
	v_add_f32_e32 v108, v112, v108
	v_sub_f32_e32 v112, v135, v205
	;; [unrolled: 2-line block ×4, first 2 shown]
	v_mul_f32_e32 v194, 0xbf3f9e67, v126
	v_add_f32_e32 v108, v112, v108
	v_sub_f32_e32 v112, v169, v235
	v_add_f32_e32 v106, v184, v106
	v_mul_f32_e32 v204, 0x3f62ad3f, v140
	v_add_f32_e32 v118, v112, v108
	v_add_f32_e32 v106, v40, v106
	;; [unrolled: 1-line block ×3, first 2 shown]
	v_mul_f32_e32 v214, 0x3df6dbef, v152
	v_add_f32_e32 v106, v108, v106
	v_add_f32_e32 v108, v204, v129
	v_mul_f32_e32 v224, 0xbf788fa5, v163
	v_add_f32_e32 v106, v108, v106
	v_add_f32_e32 v108, v214, v143
	;; [unrolled: 3-line block ×3, first 2 shown]
	v_add_f32_e32 v106, v108, v106
	v_add_f32_e32 v108, v234, v165
	v_sub_f32_e32 v102, v102, v183
	v_add_f32_e32 v117, v108, v106
	v_add_f32_e32 v102, v41, v102
	v_sub_f32_e32 v106, v111, v193
	v_add_f32_e32 v102, v106, v102
	v_sub_f32_e32 v106, v124, v203
	;; [unrolled: 2-line block ×4, first 2 shown]
	v_mul_f32_e32 v192, 0xbf788fa5, v126
	v_add_f32_e32 v102, v106, v102
	v_sub_f32_e32 v106, v161, v233
	v_add_f32_e32 v100, v182, v100
	v_mul_f32_e32 v202, 0xbeb58ec6, v140
	v_add_f32_e32 v108, v106, v102
	v_add_f32_e32 v100, v40, v100
	;; [unrolled: 1-line block ×3, first 2 shown]
	v_mul_f32_e32 v212, 0x3f62ad3f, v152
	v_add_f32_e32 v100, v102, v100
	v_add_f32_e32 v102, v202, v119
	v_mul_f32_e32 v222, 0x3f116cb1, v163
	v_add_f32_e32 v100, v102, v100
	v_add_f32_e32 v102, v212, v132
	;; [unrolled: 3-line block ×3, first 2 shown]
	v_add_f32_e32 v100, v102, v100
	v_add_f32_e32 v102, v232, v157
	v_sub_f32_e32 v98, v98, v181
	v_add_f32_e32 v107, v102, v100
	v_add_f32_e32 v98, v41, v98
	v_sub_f32_e32 v100, v104, v191
	v_sub_f32_e32 v95, v95, v179
	v_add_f32_e32 v98, v100, v98
	v_sub_f32_e32 v100, v113, v201
	v_add_f32_e32 v95, v41, v95
	v_add_f32_e32 v41, v43, v41
	v_add_f32_e32 v98, v100, v98
	v_sub_f32_e32 v100, v125, v211
	v_add_f32_e32 v41, v45, v41
	v_add_f32_e32 v98, v100, v98
	v_sub_f32_e32 v100, v139, v221
	v_add_f32_e32 v41, v47, v41
	v_mul_f32_e32 v190, 0xbeb58ec6, v126
	v_add_f32_e32 v98, v100, v98
	v_sub_f32_e32 v100, v153, v231
	v_add_f32_e32 v96, v180, v96
	v_add_f32_e32 v41, v49, v41
	v_mul_f32_e32 v200, 0xbf788fa5, v140
	v_add_f32_e32 v102, v100, v98
	v_add_f32_e32 v96, v40, v96
	;; [unrolled: 1-line block ×4, first 2 shown]
	v_mul_f32_e32 v210, 0xbf3f9e67, v152
	v_add_f32_e32 v96, v98, v96
	v_add_f32_e32 v98, v200, v109
	v_add_f32_e32 v41, v53, v41
	v_mul_f32_e32 v220, 0x3df6dbef, v163
	v_add_f32_e32 v96, v98, v96
	v_add_f32_e32 v98, v210, v120
	v_add_f32_e32 v41, v55, v41
	;; [unrolled: 4-line block ×3, first 2 shown]
	v_add_f32_e32 v96, v98, v96
	v_add_f32_e32 v98, v230, v148
	;; [unrolled: 1-line block ×5, first 2 shown]
	v_sub_f32_e32 v96, v99, v189
	v_add_f32_e32 v35, v44, v35
	v_add_f32_e32 v95, v96, v95
	v_sub_f32_e32 v96, v105, v199
	v_add_f32_e32 v35, v46, v35
	v_add_f32_e32 v95, v96, v95
	;; [unrolled: 3-line block ×3, first 2 shown]
	v_sub_f32_e32 v96, v128, v219
	v_add_f32_e32 v35, v50, v35
	v_mul_f32_e32 v188, 0x3f116cb1, v126
	v_add_f32_e32 v95, v96, v95
	v_sub_f32_e32 v96, v142, v229
	v_add_f32_e32 v94, v178, v94
	v_add_f32_e32 v35, v52, v35
	v_mul_f32_e32 v198, 0x3df6dbef, v140
	v_add_f32_e32 v95, v96, v95
	v_add_f32_e32 v94, v40, v94
	;; [unrolled: 1-line block ×4, first 2 shown]
	v_mul_f32_e32 v208, 0xbeb58ec6, v152
	v_add_f32_e32 v94, v96, v94
	v_add_f32_e32 v96, v198, v103
	v_add_f32_e32 v32, v32, v35
	v_mul_f32_e32 v218, 0xbf3f9e67, v163
	v_add_f32_e32 v94, v96, v94
	v_add_f32_e32 v96, v208, v110
	v_add_f32_e32 v32, v34, v32
	;; [unrolled: 4-line block ×3, first 2 shown]
	v_add_f32_e32 v32, v36, v32
	v_add_f32_e32 v94, v96, v94
	;; [unrolled: 1-line block ×8, first 2 shown]
	v_lshlrev_b32_e32 v34, 3, v89
	v_add_f32_e32 v176, v176, v238
	ds_write2_b64 v34, v[32:33], v[94:95] offset1:1
	ds_write2_b64 v34, v[101:102], v[107:108] offset0:2 offset1:3
	ds_write2_b64 v34, v[117:118], v[146:147] offset0:4 offset1:5
	;; [unrolled: 1-line block ×5, first 2 shown]
	ds_write_b64 v34, v[56:57] offset:96
.LBB0_17:
	s_or_b64 exec, exec, s[2:3]
	v_add_u32_e32 v36, 0xa00, v87
	s_waitcnt lgkmcnt(0)
	s_barrier
	ds_read2_b64 v[36:39], v36 offset0:44 offset1:226
	v_add_u32_e32 v40, 0x1600, v87
	ds_read2_b64 v[40:43], v40 offset0:24 offset1:206
	v_add_u32_e32 v44, 0x2000, v87
	ds_read2_b64 v[44:47], v44 offset0:68 offset1:250
	ds_read2_b64 v[32:35], v87 offset1:182
	s_waitcnt lgkmcnt(3)
	v_mul_f32_e32 v48, v17, v37
	v_mul_f32_e32 v17, v17, v36
	v_fmac_f32_e32 v48, v16, v36
	v_fma_f32 v16, v16, v37, -v17
	s_waitcnt lgkmcnt(2)
	v_mul_f32_e32 v17, v19, v41
	v_mul_f32_e32 v19, v19, v40
	v_fmac_f32_e32 v17, v18, v40
	v_fma_f32 v18, v18, v41, -v19
	s_waitcnt lgkmcnt(1)
	v_mul_f32_e32 v19, v62, v45
	v_mul_f32_e32 v36, v62, v44
	;; [unrolled: 1-line block ×4, first 2 shown]
	v_fmac_f32_e32 v19, v61, v44
	v_fma_f32 v36, v61, v45, -v36
	v_fmac_f32_e32 v37, v12, v38
	v_fma_f32 v12, v12, v39, -v13
	v_mul_f32_e32 v13, v15, v43
	v_mul_f32_e32 v15, v15, v42
	s_waitcnt lgkmcnt(0)
	v_sub_f32_e32 v41, v32, v17
	v_fmac_f32_e32 v13, v14, v42
	v_fma_f32 v38, v14, v43, -v15
	v_mul_f32_e32 v14, v60, v46
	v_sub_f32_e32 v42, v33, v18
	v_fma_f32 v17, v32, 2.0, -v41
	v_sub_f32_e32 v19, v48, v19
	v_sub_f32_e32 v32, v16, v36
	v_fma_f32 v40, v59, v47, -v14
	v_fma_f32 v18, v33, 2.0, -v42
	v_fma_f32 v14, v48, 2.0, -v19
	;; [unrolled: 1-line block ×3, first 2 shown]
	v_mul_f32_e32 v39, v60, v47
	v_sub_f32_e32 v14, v17, v14
	v_sub_f32_e32 v15, v18, v15
	v_fmac_f32_e32 v39, v59, v46
	v_fma_f32 v16, v17, 2.0, -v14
	v_fma_f32 v17, v18, 2.0, -v15
	v_add_f32_e32 v18, v41, v32
	v_sub_f32_e32 v19, v42, v19
	v_fma_f32 v32, v41, 2.0, -v18
	v_sub_f32_e32 v41, v34, v13
	v_sub_f32_e32 v39, v37, v39
	v_fma_f32 v33, v42, 2.0, -v19
	v_sub_f32_e32 v42, v35, v38
	v_fma_f32 v13, v34, 2.0, -v41
	;; [unrolled: 2-line block ×3, first 2 shown]
	v_fma_f32 v38, v35, 2.0, -v42
	v_fma_f32 v12, v12, 2.0, -v40
	v_sub_f32_e32 v34, v13, v34
	v_sub_f32_e32 v35, v38, v12
	v_fma_f32 v36, v13, 2.0, -v34
	v_add_f32_e32 v12, v41, v40
	v_sub_f32_e32 v13, v42, v39
	v_fma_f32 v37, v38, 2.0, -v35
	v_fma_f32 v38, v41, 2.0, -v12
	;; [unrolled: 1-line block ×3, first 2 shown]
	s_barrier
	ds_write2_b64 v90, v[16:17], v[32:33] offset1:13
	ds_write2_b64 v90, v[14:15], v[18:19] offset0:26 offset1:39
	ds_write2_b64 v91, v[36:37], v[38:39] offset1:13
	ds_write2_b64 v91, v[34:35], v[12:13] offset0:26 offset1:39
	v_add_u32_e32 v14, 0xc00, v87
	s_waitcnt lgkmcnt(0)
	s_barrier
	ds_read2_b64 v[36:39], v14 offset0:32 offset1:240
	v_add_u32_e32 v14, 0x1a00, v87
	ds_read2_b64 v[16:19], v87 offset1:208
	ds_read2_b64 v[32:35], v14 offset1:208
	ds_read_b64 v[40:41], v87 offset:9984
	s_and_saveexec_b64 s[2:3], s[0:1]
	s_cbranch_execz .LBB0_19
; %bb.18:
	v_add_u32_e32 v13, 0x1200, v87
	v_add_u32_e32 v12, 0x500, v87
	ds_read2_b64 v[42:45], v13 offset0:22 offset1:230
	v_add_u32_e32 v13, 0x1f00, v87
	ds_read2_b64 v[54:57], v13 offset0:22 offset1:230
	ds_read2_b64 v[12:15], v12 offset0:22 offset1:230
	ds_read_b64 v[75:76], v87 offset:11440
	s_waitcnt lgkmcnt(2)
	v_mov_b32_e32 v79, v54
	v_mov_b32_e32 v81, v44
	;; [unrolled: 1-line block ×6, first 2 shown]
	s_waitcnt lgkmcnt(1)
	v_mov_b32_e32 v85, v14
	v_mov_b32_e32 v86, v15
.LBB0_19:
	s_or_b64 exec, exec, s[2:3]
	s_waitcnt lgkmcnt(2)
	v_mul_f32_e32 v14, v29, v19
	v_mul_f32_e32 v15, v29, v18
	v_fmac_f32_e32 v14, v28, v18
	v_fma_f32 v15, v28, v19, -v15
	v_mul_f32_e32 v28, v25, v39
	v_mul_f32_e32 v25, v25, v38
	v_fmac_f32_e32 v28, v24, v38
	v_fma_f32 v24, v24, v39, -v25
	s_waitcnt lgkmcnt(1)
	v_mul_f32_e32 v25, v27, v33
	v_mul_f32_e32 v27, v27, v32
	v_fmac_f32_e32 v25, v26, v32
	v_fma_f32 v26, v26, v33, -v27
	v_mul_f32_e32 v27, v21, v35
	v_mul_f32_e32 v21, v21, v34
	;; [unrolled: 1-line block ×3, first 2 shown]
	v_fmac_f32_e32 v27, v20, v34
	v_fma_f32 v20, v20, v35, -v21
	s_waitcnt lgkmcnt(0)
	v_mul_f32_e32 v21, v23, v41
	v_fmac_f32_e32 v18, v30, v36
	v_mul_f32_e32 v19, v31, v36
	v_fmac_f32_e32 v21, v22, v40
	v_mul_f32_e32 v23, v23, v40
	v_fma_f32 v19, v30, v37, -v19
	v_fma_f32 v22, v22, v41, -v23
	v_add_f32_e32 v23, v14, v21
	v_sub_f32_e32 v14, v14, v21
	v_add_f32_e32 v21, v18, v27
	v_add_f32_e32 v29, v15, v22
	v_sub_f32_e32 v15, v15, v22
	v_add_f32_e32 v22, v19, v20
	v_sub_f32_e32 v18, v18, v27
	v_sub_f32_e32 v19, v19, v20
	v_add_f32_e32 v20, v28, v25
	v_add_f32_e32 v27, v24, v26
	v_sub_f32_e32 v25, v25, v28
	v_sub_f32_e32 v24, v26, v24
	v_add_f32_e32 v26, v21, v23
	v_add_f32_e32 v28, v22, v29
	v_sub_f32_e32 v30, v21, v23
	v_sub_f32_e32 v23, v23, v20
	;; [unrolled: 1-line block ×3, first 2 shown]
	v_add_f32_e32 v32, v25, v18
	v_add_f32_e32 v20, v20, v26
	v_sub_f32_e32 v31, v22, v29
	v_sub_f32_e32 v29, v29, v27
	;; [unrolled: 1-line block ×3, first 2 shown]
	v_add_f32_e32 v33, v24, v19
	v_sub_f32_e32 v34, v25, v18
	v_sub_f32_e32 v25, v14, v25
	;; [unrolled: 1-line block ×3, first 2 shown]
	v_add_f32_e32 v26, v27, v28
	v_add_f32_e32 v27, v32, v14
	v_add_f32_e32 v14, v16, v20
	v_sub_f32_e32 v35, v24, v19
	v_sub_f32_e32 v24, v15, v24
	;; [unrolled: 1-line block ×3, first 2 shown]
	v_add_f32_e32 v28, v33, v15
	v_add_f32_e32 v15, v17, v26
	v_mov_b32_e32 v36, v14
	v_mul_f32_e32 v16, 0x3f4a47b2, v23
	v_mul_f32_e32 v17, 0x3f4a47b2, v29
	v_mul_f32_e32 v23, 0x3d64c772, v21
	v_mul_f32_e32 v29, 0x3d64c772, v22
	v_mul_f32_e32 v32, 0x3f08b237, v34
	v_mul_f32_e32 v33, 0x3f08b237, v35
	s_mov_b32 s8, 0xbf5ff5aa
	v_fmac_f32_e32 v36, 0xbf955555, v20
	v_mov_b32_e32 v20, v15
	s_mov_b32 s9, 0x3f3bfb3b
	s_mov_b32 s10, 0xbf3bfb3b
	v_mul_f32_e32 v34, 0xbf5ff5aa, v18
	v_mul_f32_e32 v35, 0xbf5ff5aa, v19
	v_fmac_f32_e32 v20, 0xbf955555, v26
	v_fma_f32 v23, v30, s9, -v23
	v_fma_f32 v26, v31, s9, -v29
	;; [unrolled: 1-line block ×3, first 2 shown]
	v_fmac_f32_e32 v16, 0x3d64c772, v21
	v_fma_f32 v21, v31, s10, -v17
	v_fmac_f32_e32 v17, 0x3d64c772, v22
	v_fma_f32 v30, v18, s8, -v32
	;; [unrolled: 2-line block ×3, first 2 shown]
	v_fmac_f32_e32 v33, 0xbeae86e6, v24
	s_mov_b32 s11, 0x3eae86e6
	v_fma_f32 v25, v25, s11, -v34
	v_fma_f32 v24, v24, s11, -v35
	v_add_f32_e32 v31, v16, v36
	v_add_f32_e32 v34, v17, v20
	v_fmac_f32_e32 v32, 0xbee1c552, v27
	v_fmac_f32_e32 v33, 0xbee1c552, v28
	v_add_f32_e32 v23, v23, v36
	v_add_f32_e32 v26, v26, v20
	;; [unrolled: 1-line block ×4, first 2 shown]
	v_fmac_f32_e32 v30, 0xbee1c552, v27
	v_fmac_f32_e32 v22, 0xbee1c552, v28
	;; [unrolled: 1-line block ×4, first 2 shown]
	v_add_f32_e32 v16, v33, v31
	v_sub_f32_e32 v17, v34, v32
	v_add_f32_e32 v18, v24, v29
	v_sub_f32_e32 v19, v35, v25
	v_sub_f32_e32 v20, v23, v22
	v_add_f32_e32 v21, v30, v26
	v_add_f32_e32 v22, v22, v23
	v_sub_f32_e32 v23, v26, v30
	v_sub_f32_e32 v24, v29, v24
	v_add_f32_e32 v25, v25, v35
	s_barrier
	ds_write2_b64 v93, v[14:15], v[16:17] offset1:52
	ds_write2_b64 v93, v[18:19], v[20:21] offset0:104 offset1:156
	v_add_u32_e32 v14, 0x400, v93
	v_sub_f32_e32 v26, v31, v33
	v_add_f32_e32 v27, v32, v34
	ds_write2_b64 v14, v[22:23], v[24:25] offset0:80 offset1:132
	ds_write_b64 v93, v[26:27] offset:2496
	s_and_saveexec_b64 s[2:3], s[0:1]
	s_cbranch_execz .LBB0_21
; %bb.20:
	v_mul_f32_e32 v15, v3, v76
	v_mul_f32_e32 v3, v3, v75
	v_mul_f32_e32 v14, v9, v86
	v_fmac_f32_e32 v15, v2, v75
	v_fma_f32 v2, v2, v76, -v3
	v_mul_f32_e32 v3, v9, v85
	v_fmac_f32_e32 v14, v8, v85
	v_mul_f32_e32 v18, v5, v82
	v_fma_f32 v8, v8, v86, -v3
	v_mul_f32_e32 v3, v5, v81
	v_fmac_f32_e32 v18, v4, v81
	v_fma_f32 v4, v4, v82, -v3
	v_mul_f32_e32 v3, v7, v79
	v_mul_f32_e32 v22, v1, v57
	v_fma_f32 v5, v6, v80, -v3
	v_mul_f32_e32 v1, v1, v56
	v_mul_f32_e32 v17, v7, v80
	;; [unrolled: 1-line block ×3, first 2 shown]
	v_fmac_f32_e32 v22, v0, v56
	v_add_f32_e32 v9, v2, v8
	v_add_f32_e32 v3, v4, v5
	v_fma_f32 v7, v0, v57, -v1
	v_mul_f32_e32 v0, v11, v83
	v_fmac_f32_e32 v17, v6, v79
	v_fmac_f32_e32 v21, v10, v83
	v_sub_f32_e32 v6, v9, v3
	v_fma_f32 v10, v10, v84, -v0
	v_mul_f32_e32 v6, 0x3f4a47b2, v6
	v_add_f32_e32 v11, v7, v10
	v_sub_f32_e32 v0, v3, v11
	v_mov_b32_e32 v27, v6
	v_mul_f32_e32 v26, 0x3d64c772, v0
	v_fmac_f32_e32 v27, 0x3d64c772, v0
	v_add_f32_e32 v0, v11, v9
	v_add_f32_e32 v0, v3, v0
	;; [unrolled: 1-line block ×3, first 2 shown]
	v_mov_b32_e32 v13, v1
	v_sub_f32_e32 v16, v14, v15
	v_fmac_f32_e32 v13, 0xbf955555, v0
	v_add_f32_e32 v14, v15, v14
	v_add_f32_e32 v0, v18, v17
	v_sub_f32_e32 v15, v14, v0
	v_sub_f32_e32 v19, v17, v18
	v_mul_f32_e32 v15, 0x3f4a47b2, v15
	v_add_f32_e32 v17, v22, v21
	v_sub_f32_e32 v23, v21, v22
	v_sub_f32_e32 v18, v0, v17
	v_mov_b32_e32 v22, v15
	v_mul_f32_e32 v21, 0x3d64c772, v18
	v_fmac_f32_e32 v22, 0x3d64c772, v18
	v_add_f32_e32 v18, v17, v14
	v_sub_f32_e32 v20, v16, v19
	v_sub_f32_e32 v24, v19, v23
	v_add_f32_e32 v19, v19, v23
	v_add_f32_e32 v18, v0, v18
	v_sub_f32_e32 v8, v8, v2
	v_sub_f32_e32 v2, v5, v4
	;; [unrolled: 1-line block ×3, first 2 shown]
	v_mul_f32_e32 v24, 0x3f08b237, v24
	v_add_f32_e32 v19, v19, v16
	v_add_f32_e32 v0, v12, v18
	v_sub_f32_e32 v4, v8, v2
	v_sub_f32_e32 v5, v2, v7
	v_add_f32_e32 v2, v2, v7
	v_sub_f32_e32 v16, v23, v16
	v_mov_b32_e32 v25, v24
	v_mov_b32_e32 v12, v0
	v_mul_f32_e32 v10, 0x3f08b237, v5
	v_add_f32_e32 v28, v2, v8
	v_mul_f32_e32 v5, 0xbf5ff5aa, v16
	v_sub_f32_e32 v9, v11, v9
	v_sub_f32_e32 v8, v7, v8
	v_fmac_f32_e32 v25, 0xbeae86e6, v20
	v_fmac_f32_e32 v12, 0xbf955555, v18
	v_fma_f32 v20, v20, s11, -v5
	v_fma_f32 v5, v9, s10, -v6
	v_sub_f32_e32 v6, v17, v14
	v_mul_f32_e32 v7, 0xbf5ff5aa, v8
	v_add_f32_e32 v18, v22, v12
	v_mov_b32_e32 v22, v10
	v_fma_f32 v14, v6, s10, -v15
	v_fma_f32 v15, v4, s11, -v7
	;; [unrolled: 1-line block ×3, first 2 shown]
	v_add_f32_e32 v27, v27, v13
	v_fmac_f32_e32 v22, 0xbeae86e6, v4
	v_add_f32_e32 v11, v5, v13
	v_add_f32_e32 v9, v7, v13
	v_fma_f32 v13, v16, s8, -v24
	v_fma_f32 v8, v8, s8, -v10
	;; [unrolled: 1-line block ×3, first 2 shown]
	v_fmac_f32_e32 v25, 0xbee1c552, v19
	v_fmac_f32_e32 v22, 0xbee1c552, v28
	v_add_f32_e32 v14, v14, v12
	v_fmac_f32_e32 v15, 0xbee1c552, v28
	v_fmac_f32_e32 v13, 0xbee1c552, v19
	;; [unrolled: 1-line block ×3, first 2 shown]
	v_add_f32_e32 v10, v6, v12
	v_fmac_f32_e32 v20, 0xbee1c552, v19
	v_sub_f32_e32 v4, v14, v15
	v_sub_f32_e32 v7, v9, v13
	v_add_f32_e32 v6, v8, v10
	v_add_f32_e32 v9, v13, v9
	v_sub_f32_e32 v8, v10, v8
	v_add_f32_e32 v10, v15, v14
	v_sub_f32_e32 v13, v27, v25
	v_add_f32_e32 v12, v22, v18
	v_add_u32_e32 v14, 0x2000, v92
	v_add_f32_e32 v5, v20, v11
	v_sub_f32_e32 v11, v11, v20
	ds_write2_b64 v14, v[0:1], v[12:13] offset0:68 offset1:120
	ds_write2_b64 v14, v[10:11], v[8:9] offset0:172 offset1:224
	v_add_u32_e32 v0, 0x2800, v92
	v_add_f32_e32 v3, v25, v27
	v_sub_f32_e32 v2, v18, v22
	ds_write2_b64 v0, v[6:7], v[4:5] offset0:20 offset1:72
	ds_write_b64 v92, v[2:3] offset:11232
.LBB0_21:
	s_or_b64 exec, exec, s[2:3]
	v_add_u32_e32 v16, 0x1600, v87
	s_waitcnt lgkmcnt(0)
	s_barrier
	ds_read2_b64 v[4:7], v16 offset0:24 offset1:206
	v_add_u32_e32 v18, 0x2000, v87
	ds_read2_b64 v[12:15], v18 offset0:68 offset1:250
	ds_read2_b64 v[0:3], v87 offset1:182
	v_add_u32_e32 v17, 0xa00, v87
	s_waitcnt lgkmcnt(2)
	v_mul_f32_e32 v19, v64, v5
	ds_read2_b64 v[8:11], v17 offset0:44 offset1:226
	v_fmac_f32_e32 v19, v63, v4
	v_mul_f32_e32 v4, v64, v4
	v_fma_f32 v5, v63, v5, -v4
	v_mul_f32_e32 v4, v66, v6
	v_mul_f32_e32 v20, v66, v7
	v_fma_f32 v7, v65, v7, -v4
	s_waitcnt lgkmcnt(2)
	v_mul_f32_e32 v4, v64, v12
	v_fmac_f32_e32 v20, v65, v6
	v_mul_f32_e32 v21, v64, v13
	v_fma_f32 v13, v63, v13, -v4
	v_mul_f32_e32 v22, v66, v15
	v_mul_f32_e32 v4, v66, v14
	v_fmac_f32_e32 v21, v63, v12
	v_fmac_f32_e32 v22, v65, v14
	v_fma_f32 v15, v65, v15, -v4
	s_waitcnt lgkmcnt(1)
	v_sub_f32_e32 v4, v0, v19
	v_sub_f32_e32 v5, v1, v5
	;; [unrolled: 1-line block ×4, first 2 shown]
	v_fma_f32 v0, v0, 2.0, -v4
	v_fma_f32 v1, v1, 2.0, -v5
	;; [unrolled: 1-line block ×4, first 2 shown]
	s_waitcnt lgkmcnt(0)
	v_sub_f32_e32 v12, v8, v21
	v_sub_f32_e32 v13, v9, v13
	;; [unrolled: 1-line block ×4, first 2 shown]
	v_fma_f32 v8, v8, 2.0, -v12
	v_fma_f32 v9, v9, 2.0, -v13
	;; [unrolled: 1-line block ×4, first 2 shown]
	s_barrier
	ds_write2_b64 v87, v[0:1], v[2:3] offset1:182
	ds_write2_b64 v17, v[4:5], v[6:7] offset0:44 offset1:226
	ds_write2_b64 v16, v[8:9], v[10:11] offset0:24 offset1:206
	;; [unrolled: 1-line block ×3, first 2 shown]
	s_waitcnt lgkmcnt(0)
	s_barrier
	ds_read2_b64 v[0:3], v16 offset0:24 offset1:206
	ds_read2_b64 v[4:7], v87 offset1:182
	ds_read2_b64 v[8:11], v17 offset0:44 offset1:226
	ds_read2_b64 v[12:15], v18 offset0:68 offset1:250
	s_movk_i32 s2, 0x2000
	s_waitcnt lgkmcnt(3)
	v_mul_f32_e32 v19, v68, v1
	v_fmac_f32_e32 v19, v67, v0
	v_mul_f32_e32 v0, v68, v0
	v_fma_f32 v1, v67, v1, -v0
	v_mul_f32_e32 v0, v70, v2
	v_fma_f32 v21, v69, v3, -v0
	s_waitcnt lgkmcnt(0)
	v_mul_f32_e32 v0, v72, v12
	v_mul_f32_e32 v20, v70, v3
	;; [unrolled: 1-line block ×3, first 2 shown]
	v_fma_f32 v13, v71, v13, -v0
	v_mul_f32_e32 v0, v74, v14
	v_fmac_f32_e32 v20, v69, v2
	v_mul_f32_e32 v23, v74, v15
	v_fma_f32 v15, v73, v15, -v0
	v_sub_f32_e32 v0, v4, v19
	v_sub_f32_e32 v1, v5, v1
	v_fmac_f32_e32 v22, v71, v12
	v_fmac_f32_e32 v23, v73, v14
	v_fma_f32 v2, v4, 2.0, -v0
	v_fma_f32 v3, v5, 2.0, -v1
	v_sub_f32_e32 v4, v6, v20
	v_sub_f32_e32 v5, v7, v21
	v_fma_f32 v6, v6, 2.0, -v4
	v_fma_f32 v7, v7, 2.0, -v5
	v_sub_f32_e32 v12, v8, v22
	v_sub_f32_e32 v13, v9, v13
	;; [unrolled: 1-line block ×4, first 2 shown]
	v_fma_f32 v8, v8, 2.0, -v12
	v_fma_f32 v9, v9, 2.0, -v13
	;; [unrolled: 1-line block ×4, first 2 shown]
	ds_write2_b64 v87, v[2:3], v[6:7] offset1:182
	ds_write2_b64 v16, v[0:1], v[4:5] offset0:24 offset1:206
	ds_write2_b64 v17, v[8:9], v[10:11] offset0:44 offset1:226
	;; [unrolled: 1-line block ×3, first 2 shown]
	s_waitcnt lgkmcnt(0)
	s_barrier
	s_and_b64 exec, exec, vcc
	s_cbranch_execz .LBB0_23
; %bb.22:
	global_load_dwordx2 v[8:9], v87, s[14:15]
	global_load_dwordx2 v[10:11], v87, s[14:15] offset:896
	global_load_dwordx2 v[12:13], v87, s[14:15] offset:1792
	;; [unrolled: 1-line block ×3, first 2 shown]
	ds_read_b64 v[16:17], v87
	global_load_dwordx2 v[22:23], v87, s[14:15] offset:3584
	v_mad_u64_u32 v[18:19], s[0:1], s6, v58, 0
	v_mad_u64_u32 v[20:21], s[8:9], s4, v88, 0
	v_mov_b32_e32 v4, s15
	v_add_co_u32_e32 v38, vcc, s14, v87
	s_mul_i32 s6, s5, 0x380
	s_mul_hi_u32 s8, s4, 0x380
	s_movk_i32 s9, 0x1000
	v_addc_co_u32_e32 v39, vcc, 0, v4, vcc
	v_or_b32_e32 v37, 0x380, v88
	s_add_i32 s6, s8, s6
	v_add_co_u32_e32 v24, vcc, s9, v38
	v_mad_u64_u32 v[28:29], s[8:9], s7, v58, v[19:20]
	v_add_u32_e32 v5, 0x800, v87
	v_lshlrev_b32_e32 v26, 3, v37
	v_addc_co_u32_e32 v25, vcc, 0, v39, vcc
	ds_read2_b64 v[0:3], v87 offset0:112 offset1:224
	ds_read2_b64 v[4:7], v5 offset0:80 offset1:192
	global_load_dwordx2 v[26:27], v26, s[14:15]
	v_mov_b32_e32 v19, v28
	v_lshlrev_b64 v[18:19], 3, v[18:19]
	v_mov_b32_e32 v36, s13
	v_add_co_u32_e32 v28, vcc, s12, v18
	s_mul_i32 s3, s4, 0x380
	v_mov_b32_e32 v40, s6
	s_mov_b32 s0, 0x16816817
	s_mov_b32 s1, 0x3f468168
	v_mov_b32_e32 v41, s6
	s_waitcnt vmcnt(3) lgkmcnt(1)
	v_mul_f32_e32 v42, v3, v13
	v_mul_f32_e32 v13, v2, v13
	s_waitcnt vmcnt(2) lgkmcnt(0)
	v_mul_f32_e32 v43, v5, v15
	s_waitcnt vmcnt(1)
	v_mad_u64_u32 v[29:30], s[8:9], s5, v88, v[21:22]
	global_load_dwordx2 v[30:31], v[24:25], off offset:384
	global_load_dwordx2 v[32:33], v[24:25], off offset:1280
	;; [unrolled: 1-line block ×3, first 2 shown]
	v_mul_f32_e32 v15, v4, v15
	v_mov_b32_e32 v21, v29
	v_lshlrev_b64 v[20:21], 3, v[20:21]
	v_addc_co_u32_e32 v29, vcc, v36, v19, vcc
	v_add_co_u32_e32 v18, vcc, v28, v20
	v_addc_co_u32_e32 v19, vcc, v29, v21, vcc
	v_add_co_u32_e32 v20, vcc, s3, v18
	v_mul_f32_e32 v36, v17, v9
	v_mul_f32_e32 v9, v16, v9
	v_addc_co_u32_e32 v21, vcc, v19, v40, vcc
	v_mul_f32_e32 v40, v1, v11
	v_mul_f32_e32 v11, v0, v11
	v_fmac_f32_e32 v36, v16, v8
	v_fma_f32 v8, v8, v17, -v9
	v_fmac_f32_e32 v40, v0, v10
	v_fma_f32 v9, v10, v1, -v11
	v_fmac_f32_e32 v42, v2, v12
	v_fma_f32 v12, v12, v3, -v13
	v_cvt_f64_f32_e32 v[0:1], v36
	v_cvt_f64_f32_e32 v[2:3], v8
	v_fmac_f32_e32 v43, v4, v14
	v_fma_f32 v16, v14, v5, -v15
	v_cvt_f64_f32_e32 v[4:5], v40
	v_cvt_f64_f32_e32 v[8:9], v9
	;; [unrolled: 1-line block ×4, first 2 shown]
	v_mul_f64 v[0:1], v[0:1], s[0:1]
	v_mul_f64 v[2:3], v[2:3], s[0:1]
	;; [unrolled: 1-line block ×6, first 2 shown]
	v_cvt_f64_f32_e32 v[16:17], v16
	v_cvt_f64_f32_e32 v[14:15], v43
	v_cvt_f32_f64_e32 v0, v[0:1]
	v_cvt_f32_f64_e32 v1, v[2:3]
	;; [unrolled: 1-line block ×6, first 2 shown]
	global_store_dwordx2 v[18:19], v[0:1], off
	global_store_dwordx2 v[20:21], v[2:3], off
	v_add_co_u32_e32 v0, vcc, s3, v20
	v_addc_co_u32_e32 v1, vcc, v21, v41, vcc
	global_store_dwordx2 v[0:1], v[4:5], off
	v_mul_f64 v[2:3], v[16:17], s[0:1]
	v_mul_f32_e32 v5, v7, v23
	v_fmac_f32_e32 v5, v6, v22
	v_mul_f64 v[14:15], v[14:15], s[0:1]
	v_cvt_f64_f32_e32 v[8:9], v5
	v_mul_f32_e32 v5, v6, v23
	v_fma_f32 v5, v22, v7, -v5
	v_cvt_f64_f32_e32 v[6:7], v5
	v_mul_f64 v[8:9], v[8:9], s[0:1]
	v_cvt_f32_f64_e32 v5, v[2:3]
	v_mov_b32_e32 v2, s6
	v_add_co_u32_e32 v10, vcc, s3, v0
	v_add_u32_e32 v0, 0x1000, v87
	v_addc_co_u32_e32 v11, vcc, v1, v2, vcc
	ds_read2_b64 v[0:3], v0 offset0:48 offset1:160
	v_cvt_f32_f64_e32 v4, v[14:15]
	v_mul_f64 v[6:7], v[6:7], s[0:1]
	v_mov_b32_e32 v12, s6
	v_mov_b32_e32 v20, s6
	global_store_dwordx2 v[10:11], v[4:5], off
	v_cvt_f32_f64_e32 v4, v[8:9]
	v_add_co_u32_e32 v10, vcc, s3, v10
	v_addc_co_u32_e32 v11, vcc, v11, v12, vcc
	s_waitcnt vmcnt(6) lgkmcnt(0)
	v_mul_f32_e32 v8, v1, v31
	v_fmac_f32_e32 v8, v0, v30
	v_mul_f32_e32 v0, v0, v31
	v_fma_f32 v0, v30, v1, -v0
	v_cvt_f64_f32_e32 v[8:9], v8
	v_cvt_f64_f32_e32 v[0:1], v0
	v_cvt_f32_f64_e32 v5, v[6:7]
	v_add_co_u32_e32 v12, vcc, s2, v38
	v_mul_f64 v[8:9], v[8:9], s[0:1]
	v_mul_f64 v[0:1], v[0:1], s[0:1]
	global_store_dwordx2 v[10:11], v[4:5], off
	v_addc_co_u32_e32 v13, vcc, 0, v39, vcc
	global_load_dwordx2 v[6:7], v[24:25], off offset:3968
	global_load_dwordx2 v[14:15], v[12:13], off offset:768
	s_mul_i32 s2, s5, 0x700
	v_cvt_f32_f64_e32 v4, v[8:9]
	v_cvt_f32_f64_e32 v5, v[0:1]
	v_mov_b32_e32 v9, s6
	v_add_co_u32_e32 v8, vcc, s3, v10
	v_addc_co_u32_e32 v9, vcc, v11, v9, vcc
	global_store_dwordx2 v[8:9], v[4:5], off
	global_load_dwordx2 v[4:5], v[12:13], off offset:1664
	s_waitcnt vmcnt(10)
	v_mul_f32_e32 v0, v3, v33
	global_load_dwordx2 v[12:13], v[12:13], off offset:2560
	v_fmac_f32_e32 v0, v2, v32
	v_cvt_f64_f32_e32 v[0:1], v0
	v_add_co_u32_e32 v8, vcc, s3, v8
	v_addc_co_u32_e32 v9, vcc, v9, v20, vcc
	v_mul_f64 v[10:11], v[0:1], s[0:1]
	v_mul_f32_e32 v0, v2, v33
	v_fma_f32 v0, v32, v3, -v0
	v_cvt_f64_f32_e32 v[16:17], v0
	v_add_u32_e32 v0, 0x1800, v87
	ds_read2_b64 v[0:3], v0 offset0:16 offset1:128
	v_mul_f64 v[16:17], v[16:17], s[0:1]
	v_cvt_f32_f64_e32 v10, v[10:11]
	s_waitcnt vmcnt(10) lgkmcnt(0)
	v_mul_f32_e32 v11, v1, v35
	v_fmac_f32_e32 v11, v0, v34
	v_mul_f32_e32 v0, v0, v35
	v_fma_f32 v0, v34, v1, -v0
	v_cvt_f64_f32_e32 v[18:19], v11
	v_cvt_f64_f32_e32 v[0:1], v0
	v_cvt_f32_f64_e32 v11, v[16:17]
	v_mul_f64 v[16:17], v[18:19], s[0:1]
	v_mul_f64 v[0:1], v[0:1], s[0:1]
	global_store_dwordx2 v[8:9], v[10:11], off
	v_mul_f32_e32 v10, v3, v27
	v_fmac_f32_e32 v10, v2, v26
	v_cvt_f64_f32_e32 v[10:11], v10
	v_mov_b32_e32 v18, s6
	v_add_co_u32_e32 v8, vcc, s3, v8
	v_cvt_f32_f64_e32 v16, v[16:17]
	v_cvt_f32_f64_e32 v17, v[0:1]
	v_mul_f32_e32 v0, v2, v27
	v_fma_f32 v0, v26, v3, -v0
	v_mul_f64 v[10:11], v[10:11], s[0:1]
	v_cvt_f64_f32_e32 v[0:1], v0
	v_addc_co_u32_e32 v9, vcc, v9, v18, vcc
	global_store_dwordx2 v[8:9], v[16:17], off
	v_mul_f64 v[16:17], v[0:1], s[0:1]
	v_mad_u64_u32 v[18:19], s[8:9], s4, v37, 0
	v_add_u32_e32 v0, 0x1c00, v87
	ds_read2_b64 v[0:3], v0 offset0:112 offset1:224
	v_cvt_f32_f64_e32 v10, v[10:11]
	v_mov_b32_e32 v11, v19
	s_waitcnt vmcnt(2)
	v_mad_u64_u32 v[19:20], s[8:9], s5, v37, v[11:12]
	s_waitcnt lgkmcnt(0)
	v_mul_f32_e32 v11, v1, v7
	v_fmac_f32_e32 v11, v0, v6
	v_mul_f32_e32 v0, v0, v7
	v_fma_f32 v0, v6, v1, -v0
	v_cvt_f64_f32_e32 v[20:21], v11
	v_cvt_f32_f64_e32 v11, v[16:17]
	v_lshlrev_b64 v[16:17], 3, v[18:19]
	v_cvt_f64_f32_e32 v[0:1], v0
	v_add_co_u32_e32 v6, vcc, v28, v16
	v_addc_co_u32_e32 v7, vcc, v29, v17, vcc
	global_store_dwordx2 v[6:7], v[10:11], off
	v_mul_f64 v[0:1], v[0:1], s[0:1]
	v_mul_f32_e32 v10, v3, v15
	v_fmac_f32_e32 v10, v2, v14
	v_mul_f64 v[18:19], v[20:21], s[0:1]
	v_cvt_f64_f32_e32 v[10:11], v10
	v_mul_f32_e32 v2, v2, v15
	v_fma_f32 v2, v14, v3, -v2
	v_cvt_f64_f32_e32 v[2:3], v2
	v_mul_f64 v[10:11], v[10:11], s[0:1]
	v_mov_b32_e32 v7, 0x700
	v_mad_u64_u32 v[8:9], s[8:9], s4, v7, v[8:9]
	v_cvt_f32_f64_e32 v7, v[0:1]
	v_add_u32_e32 v0, 0x2400, v87
	v_mul_f64 v[14:15], v[2:3], s[0:1]
	ds_read2_b64 v[0:3], v0 offset0:80 offset1:192
	v_cvt_f32_f64_e32 v6, v[18:19]
	v_add_u32_e32 v9, s2, v9
	global_store_dwordx2 v[8:9], v[6:7], off
	v_cvt_f32_f64_e32 v6, v[10:11]
	s_waitcnt lgkmcnt(0)
	v_mul_f32_e32 v10, v1, v5
	v_fmac_f32_e32 v10, v0, v4
	v_mul_f32_e32 v0, v0, v5
	v_fma_f32 v0, v4, v1, -v0
	v_cvt_f32_f64_e32 v7, v[14:15]
	v_cvt_f64_f32_e32 v[10:11], v10
	v_cvt_f64_f32_e32 v[0:1], v0
	v_mov_b32_e32 v14, s6
	v_add_co_u32_e32 v4, vcc, s3, v8
	v_addc_co_u32_e32 v5, vcc, v9, v14, vcc
	global_store_dwordx2 v[4:5], v[6:7], off
	v_mul_f64 v[6:7], v[10:11], s[0:1]
	v_mul_f64 v[0:1], v[0:1], s[0:1]
	v_mul_f32_e32 v8, v3, v13
	v_fmac_f32_e32 v8, v2, v12
	v_mul_f32_e32 v2, v2, v13
	v_fma_f32 v2, v12, v3, -v2
	v_cvt_f64_f32_e32 v[8:9], v8
	v_cvt_f64_f32_e32 v[2:3], v2
	v_cvt_f32_f64_e32 v6, v[6:7]
	v_cvt_f32_f64_e32 v7, v[0:1]
	v_mul_f64 v[0:1], v[8:9], s[0:1]
	v_mul_f64 v[2:3], v[2:3], s[0:1]
	v_mov_b32_e32 v8, s6
	v_add_co_u32_e32 v4, vcc, s3, v4
	v_addc_co_u32_e32 v5, vcc, v5, v8, vcc
	global_store_dwordx2 v[4:5], v[6:7], off
	v_cvt_f32_f64_e32 v0, v[0:1]
	v_cvt_f32_f64_e32 v1, v[2:3]
	v_mov_b32_e32 v3, s6
	v_add_co_u32_e32 v2, vcc, s3, v4
	v_addc_co_u32_e32 v3, vcc, v5, v3, vcc
	global_store_dwordx2 v[2:3], v[0:1], off
.LBB0_23:
	s_endpgm
	.section	.rodata,"a",@progbits
	.p2align	6, 0x0
	.amdhsa_kernel bluestein_single_back_len1456_dim1_sp_op_CI_CI
		.amdhsa_group_segment_fixed_size 11648
		.amdhsa_private_segment_fixed_size 0
		.amdhsa_kernarg_size 104
		.amdhsa_user_sgpr_count 6
		.amdhsa_user_sgpr_private_segment_buffer 1
		.amdhsa_user_sgpr_dispatch_ptr 0
		.amdhsa_user_sgpr_queue_ptr 0
		.amdhsa_user_sgpr_kernarg_segment_ptr 1
		.amdhsa_user_sgpr_dispatch_id 0
		.amdhsa_user_sgpr_flat_scratch_init 0
		.amdhsa_user_sgpr_private_segment_size 0
		.amdhsa_uses_dynamic_stack 0
		.amdhsa_system_sgpr_private_segment_wavefront_offset 0
		.amdhsa_system_sgpr_workgroup_id_x 1
		.amdhsa_system_sgpr_workgroup_id_y 0
		.amdhsa_system_sgpr_workgroup_id_z 0
		.amdhsa_system_sgpr_workgroup_info 0
		.amdhsa_system_vgpr_workitem_id 0
		.amdhsa_next_free_vgpr 241
		.amdhsa_next_free_sgpr 18
		.amdhsa_reserve_vcc 1
		.amdhsa_reserve_flat_scratch 0
		.amdhsa_float_round_mode_32 0
		.amdhsa_float_round_mode_16_64 0
		.amdhsa_float_denorm_mode_32 3
		.amdhsa_float_denorm_mode_16_64 3
		.amdhsa_dx10_clamp 1
		.amdhsa_ieee_mode 1
		.amdhsa_fp16_overflow 0
		.amdhsa_exception_fp_ieee_invalid_op 0
		.amdhsa_exception_fp_denorm_src 0
		.amdhsa_exception_fp_ieee_div_zero 0
		.amdhsa_exception_fp_ieee_overflow 0
		.amdhsa_exception_fp_ieee_underflow 0
		.amdhsa_exception_fp_ieee_inexact 0
		.amdhsa_exception_int_div_zero 0
	.end_amdhsa_kernel
	.text
.Lfunc_end0:
	.size	bluestein_single_back_len1456_dim1_sp_op_CI_CI, .Lfunc_end0-bluestein_single_back_len1456_dim1_sp_op_CI_CI
                                        ; -- End function
	.section	.AMDGPU.csdata,"",@progbits
; Kernel info:
; codeLenInByte = 14728
; NumSgprs: 22
; NumVgprs: 241
; ScratchSize: 0
; MemoryBound: 0
; FloatMode: 240
; IeeeMode: 1
; LDSByteSize: 11648 bytes/workgroup (compile time only)
; SGPRBlocks: 2
; VGPRBlocks: 60
; NumSGPRsForWavesPerEU: 22
; NumVGPRsForWavesPerEU: 241
; Occupancy: 1
; WaveLimiterHint : 1
; COMPUTE_PGM_RSRC2:SCRATCH_EN: 0
; COMPUTE_PGM_RSRC2:USER_SGPR: 6
; COMPUTE_PGM_RSRC2:TRAP_HANDLER: 0
; COMPUTE_PGM_RSRC2:TGID_X_EN: 1
; COMPUTE_PGM_RSRC2:TGID_Y_EN: 0
; COMPUTE_PGM_RSRC2:TGID_Z_EN: 0
; COMPUTE_PGM_RSRC2:TIDIG_COMP_CNT: 0
	.type	__hip_cuid_f81089c352b4b9a1,@object ; @__hip_cuid_f81089c352b4b9a1
	.section	.bss,"aw",@nobits
	.globl	__hip_cuid_f81089c352b4b9a1
__hip_cuid_f81089c352b4b9a1:
	.byte	0                               ; 0x0
	.size	__hip_cuid_f81089c352b4b9a1, 1

	.ident	"AMD clang version 19.0.0git (https://github.com/RadeonOpenCompute/llvm-project roc-6.4.0 25133 c7fe45cf4b819c5991fe208aaa96edf142730f1d)"
	.section	".note.GNU-stack","",@progbits
	.addrsig
	.addrsig_sym __hip_cuid_f81089c352b4b9a1
	.amdgpu_metadata
---
amdhsa.kernels:
  - .args:
      - .actual_access:  read_only
        .address_space:  global
        .offset:         0
        .size:           8
        .value_kind:     global_buffer
      - .actual_access:  read_only
        .address_space:  global
        .offset:         8
        .size:           8
        .value_kind:     global_buffer
      - .actual_access:  read_only
        .address_space:  global
        .offset:         16
        .size:           8
        .value_kind:     global_buffer
      - .actual_access:  read_only
        .address_space:  global
        .offset:         24
        .size:           8
        .value_kind:     global_buffer
      - .actual_access:  read_only
        .address_space:  global
        .offset:         32
        .size:           8
        .value_kind:     global_buffer
      - .offset:         40
        .size:           8
        .value_kind:     by_value
      - .address_space:  global
        .offset:         48
        .size:           8
        .value_kind:     global_buffer
      - .address_space:  global
        .offset:         56
        .size:           8
        .value_kind:     global_buffer
      - .address_space:  global
        .offset:         64
        .size:           8
        .value_kind:     global_buffer
      - .address_space:  global
        .offset:         72
        .size:           8
        .value_kind:     global_buffer
      - .offset:         80
        .size:           4
        .value_kind:     by_value
      - .address_space:  global
        .offset:         88
        .size:           8
        .value_kind:     global_buffer
      - .address_space:  global
        .offset:         96
        .size:           8
        .value_kind:     global_buffer
    .group_segment_fixed_size: 11648
    .kernarg_segment_align: 8
    .kernarg_segment_size: 104
    .language:       OpenCL C
    .language_version:
      - 2
      - 0
    .max_flat_workgroup_size: 182
    .name:           bluestein_single_back_len1456_dim1_sp_op_CI_CI
    .private_segment_fixed_size: 0
    .sgpr_count:     22
    .sgpr_spill_count: 0
    .symbol:         bluestein_single_back_len1456_dim1_sp_op_CI_CI.kd
    .uniform_work_group_size: 1
    .uses_dynamic_stack: false
    .vgpr_count:     241
    .vgpr_spill_count: 0
    .wavefront_size: 64
amdhsa.target:   amdgcn-amd-amdhsa--gfx906
amdhsa.version:
  - 1
  - 2
...

	.end_amdgpu_metadata
